;; amdgpu-corpus repo=ROCm/rocFFT kind=compiled arch=gfx906 opt=O3
	.text
	.amdgcn_target "amdgcn-amd-amdhsa--gfx906"
	.amdhsa_code_object_version 6
	.protected	bluestein_single_back_len3072_dim1_dp_op_CI_CI ; -- Begin function bluestein_single_back_len3072_dim1_dp_op_CI_CI
	.globl	bluestein_single_back_len3072_dim1_dp_op_CI_CI
	.p2align	8
	.type	bluestein_single_back_len3072_dim1_dp_op_CI_CI,@function
bluestein_single_back_len3072_dim1_dp_op_CI_CI: ; @bluestein_single_back_len3072_dim1_dp_op_CI_CI
; %bb.0:
	s_load_dwordx4 s[16:19], s[4:5], 0x28
	s_mov_b64 s[22:23], s[2:3]
	s_mov_b64 s[20:21], s[0:1]
	s_add_u32 s20, s20, s7
	s_mov_b32 s7, 0
	s_waitcnt lgkmcnt(0)
	v_mov_b32_e32 v1, s16
	v_mov_b32_e32 v2, s17
	v_cmp_lt_u64_e32 vcc, s[6:7], v[1:2]
	s_addc_u32 s21, s21, 0
	s_and_saveexec_b64 s[0:1], vcc
	s_cbranch_execz .LBB0_2
; %bb.1:
	s_load_dwordx4 s[0:3], s[4:5], 0x18
	s_load_dwordx4 s[8:11], s[4:5], 0x0
	v_mov_b32_e32 v3, s6
	v_mov_b32_e32 v5, v3
	;; [unrolled: 1-line block ×3, first 2 shown]
	s_waitcnt lgkmcnt(0)
	s_load_dwordx4 s[12:15], s[0:1], 0x0
	buffer_store_dword v5, off, s[20:23], 0 offset:128 ; 4-byte Folded Spill
	s_nop 0
	buffer_store_dword v6, off, s[20:23], 0 offset:132 ; 4-byte Folded Spill
	v_mov_b32_e32 v8, s19
	v_lshlrev_b32_e32 v218, 4, v0
	v_or_b32_e32 v145, 0x200, v0
	s_waitcnt lgkmcnt(0)
	v_mad_u64_u32 v[1:2], s[0:1], s14, v3, 0
	v_mad_u64_u32 v[3:4], s[0:1], s12, v0, 0
	global_load_dwordx4 v[33:36], v218, s[8:9]
	s_add_u32 s6, s8, 0xc000
	s_addc_u32 s7, s9, 0
	v_or_b32_e32 v193, 0x100, v0
	v_mul_lo_u16_e32 v121, 0xab, v0
	v_mov_b32_e32 v195, s11
	v_mul_u32_u24_e32 v134, 0x2aab, v145
	v_mov_b32_e32 v157, 4
	v_mul_u32_u24_e32 v142, 0xaab, v145
	v_mul_u32_u24_e32 v190, 0x2ab, v145
	v_mov_b32_e32 v194, 0
	s_load_dwordx2 s[4:5], s[4:5], 0x38
	v_mad_u64_u32 v[5:6], s[0:1], s15, v5, v[2:3]
	v_mad_u64_u32 v[6:7], s[0:1], s13, v0, v[4:5]
	v_mov_b32_e32 v2, v5
	v_lshlrev_b64 v[1:2], 4, v[1:2]
	v_mov_b32_e32 v4, v6
	v_add_co_u32_e32 v5, vcc, s18, v1
	v_addc_co_u32_e32 v6, vcc, v8, v2, vcc
	v_lshlrev_b64 v[1:2], 4, v[3:4]
	v_lshlrev_b32_e32 v4, 4, v145
	global_load_dwordx4 v[29:32], v4, s[8:9]
	v_add_co_u32_e32 v1, vcc, v5, v1
	buffer_store_dword v4, off, s[20:23], 0 offset:140 ; 4-byte Folded Spill
	v_or_b32_e32 v4, 0x4000, v218
	global_load_dwordx4 v[17:20], v4, s[8:9]
	v_or_b32_e32 v4, 0x6000, v218
	global_load_dwordx4 v[25:28], v4, s[8:9]
	v_addc_co_u32_e32 v2, vcc, v6, v2, vcc
	s_lshl_b64 s[0:1], s[12:13], 13
	global_load_dwordx4 v[49:52], v[1:2], off
	v_mov_b32_e32 v3, s1
	v_add_co_u32_e32 v1, vcc, s0, v1
	v_addc_co_u32_e32 v2, vcc, v2, v3, vcc
	global_load_dwordx4 v[53:56], v[1:2], off
	v_add_co_u32_e32 v1, vcc, s0, v1
	v_addc_co_u32_e32 v2, vcc, v2, v3, vcc
	global_load_dwordx4 v[57:60], v[1:2], off
	;; [unrolled: 3-line block ×4, first 2 shown]
	v_or_b32_e32 v4, 0x8000, v218
	v_add_co_u32_e32 v1, vcc, s0, v1
	global_load_dwordx4 v[21:24], v4, s[8:9]
	v_addc_co_u32_e32 v2, vcc, v2, v3, vcc
	v_mov_b32_e32 v4, 0xffff7000
	global_load_dwordx4 v[69:72], v[1:2], off
	v_mad_u64_u32 v[1:2], s[14:15], s12, v4, v[1:2]
	s_mul_i32 s1, s13, 0xffff7000
	s_sub_i32 s1, s1, s12
	v_add_u32_e32 v2, s1, v2
	global_load_dwordx4 v[73:76], v[1:2], off
	v_lshlrev_b32_e32 v4, 4, v193
	v_add_co_u32_e32 v1, vcc, s0, v1
	v_or_b32_e32 v5, 0xa000, v218
	buffer_store_dword v4, off, s[20:23], 0 offset:136 ; 4-byte Folded Spill
	v_addc_co_u32_e32 v2, vcc, v2, v3, vcc
	global_load_dwordx4 v[41:44], v5, s[8:9]
	global_load_dwordx4 v[37:40], v4, s[8:9]
	global_load_dwordx4 v[77:80], v[1:2], off
	v_add_co_u32_e32 v1, vcc, s0, v1
	v_addc_co_u32_e32 v2, vcc, v2, v3, vcc
	global_load_dwordx4 v[81:84], v[1:2], off
	v_add_co_u32_e32 v1, vcc, s0, v1
	v_addc_co_u32_e32 v2, vcc, v2, v3, vcc
	;; [unrolled: 3-line block ×4, first 2 shown]
	v_or_b32_e32 v4, 0x3000, v218
	global_load_dwordx4 v[93:96], v[1:2], off
	v_or_b32_e32 v1, 0xb000, v218
	global_load_dwordx4 v[97:100], v4, s[8:9]
	global_load_dwordx4 v[45:48], v1, s[8:9]
	v_or_b32_e32 v4, 0x5000, v218
	global_load_dwordx4 v[233:236], v4, s[8:9]
	v_or_b32_e32 v4, 0x7000, v218
	;; [unrolled: 2-line block ×3, first 2 shown]
	global_load_dwordx4 v[223:226], v4, s[8:9]
	s_waitcnt vmcnt(25)
	buffer_store_dword v33, off, s[20:23], 0 offset:112 ; 4-byte Folded Spill
	s_nop 0
	buffer_store_dword v34, off, s[20:23], 0 offset:116 ; 4-byte Folded Spill
	buffer_store_dword v35, off, s[20:23], 0 offset:120 ; 4-byte Folded Spill
	buffer_store_dword v36, off, s[20:23], 0 offset:124 ; 4-byte Folded Spill
	s_waitcnt vmcnt(28)
	buffer_store_dword v29, off, s[20:23], 0 offset:96 ; 4-byte Folded Spill
	s_nop 0
	buffer_store_dword v30, off, s[20:23], 0 offset:100 ; 4-byte Folded Spill
	buffer_store_dword v31, off, s[20:23], 0 offset:104 ; 4-byte Folded Spill
	buffer_store_dword v32, off, s[20:23], 0 offset:108 ; 4-byte Folded Spill
	;; [unrolled: 6-line block ×4, first 2 shown]
	s_load_dwordx4 s[0:3], s[2:3], 0x0
	s_mov_b32 s8, 0xe8584caa
	s_mov_b32 s9, 0x3febb67a
	;; [unrolled: 1-line block ×4, first 2 shown]
	s_waitcnt vmcnt(36)
	v_mul_f64 v[1:2], v[51:52], v[35:36]
	v_mul_f64 v[3:4], v[49:50], v[35:36]
	s_waitcnt vmcnt(35)
	v_mul_f64 v[5:6], v[55:56], v[31:32]
	v_mul_f64 v[7:8], v[53:54], v[31:32]
	;; [unrolled: 3-line block ×4, first 2 shown]
	v_fma_f64 v[49:50], v[49:50], v[33:34], v[1:2]
	v_fma_f64 v[51:52], v[51:52], v[33:34], -v[3:4]
	v_fma_f64 v[53:54], v[53:54], v[29:30], v[5:6]
	v_fma_f64 v[55:56], v[55:56], v[29:30], -v[7:8]
	v_fma_f64 v[57:58], v[57:58], v[17:18], v[9:10]
	v_fma_f64 v[59:60], v[59:60], v[17:18], -v[11:12]
	v_fma_f64 v[61:62], v[61:62], v[25:26], v[13:14]
	v_fma_f64 v[63:64], v[63:64], v[25:26], -v[15:16]
	ds_write_b128 v218, v[49:52]
	ds_write_b128 v218, v[53:56] offset:8192
	ds_write_b128 v218, v[57:60] offset:16384
	;; [unrolled: 1-line block ×3, first 2 shown]
	s_waitcnt vmcnt(31)
	buffer_store_dword v21, off, s[20:23], 0 offset:48 ; 4-byte Folded Spill
	s_nop 0
	buffer_store_dword v22, off, s[20:23], 0 offset:52 ; 4-byte Folded Spill
	buffer_store_dword v23, off, s[20:23], 0 offset:56 ; 4-byte Folded Spill
	buffer_store_dword v24, off, s[20:23], 0 offset:60 ; 4-byte Folded Spill
	s_waitcnt vmcnt(31)
	buffer_store_dword v41, off, s[20:23], 0 offset:32 ; 4-byte Folded Spill
	s_nop 0
	buffer_store_dword v42, off, s[20:23], 0 offset:36 ; 4-byte Folded Spill
	buffer_store_dword v43, off, s[20:23], 0 offset:40 ; 4-byte Folded Spill
	buffer_store_dword v44, off, s[20:23], 0 offset:44 ; 4-byte Folded Spill
	;; [unrolled: 6-line block ×3, first 2 shown]
	s_waitcnt vmcnt(32)
	buffer_store_dword v97, off, s[20:23], 0 ; 4-byte Folded Spill
	s_nop 0
	buffer_store_dword v98, off, s[20:23], 0 offset:4 ; 4-byte Folded Spill
	buffer_store_dword v99, off, s[20:23], 0 offset:8 ; 4-byte Folded Spill
	;; [unrolled: 1-line block ×3, first 2 shown]
	v_mul_f64 v[1:2], v[67:68], v[23:24]
	v_mul_f64 v[3:4], v[65:66], v[23:24]
	;; [unrolled: 1-line block ×8, first 2 shown]
	v_fma_f64 v[49:50], v[65:66], v[21:22], v[1:2]
	v_fma_f64 v[51:52], v[67:68], v[21:22], -v[3:4]
	s_waitcnt vmcnt(34)
	v_mul_f64 v[1:2], v[83:84], v[235:236]
	v_mul_f64 v[3:4], v[81:82], v[235:236]
	v_fma_f64 v[53:54], v[69:70], v[41:42], v[5:6]
	v_fma_f64 v[55:56], v[71:72], v[41:42], -v[7:8]
	s_waitcnt vmcnt(33)
	v_mul_f64 v[5:6], v[87:88], v[229:230]
	v_mul_f64 v[7:8], v[85:86], v[229:230]
	;; [unrolled: 5-line block ×3, first 2 shown]
	v_fma_f64 v[61:62], v[77:78], v[97:98], v[13:14]
	v_fma_f64 v[63:64], v[79:80], v[97:98], -v[15:16]
	v_mul_f64 v[13:14], v[95:96], v[47:48]
	v_mul_f64 v[15:16], v[93:94], v[47:48]
	v_fma_f64 v[65:66], v[81:82], v[233:234], v[1:2]
	v_fma_f64 v[67:68], v[83:84], v[233:234], -v[3:4]
	v_fma_f64 v[69:70], v[85:86], v[227:228], v[5:6]
	v_fma_f64 v[71:72], v[87:88], v[227:228], -v[7:8]
	v_fma_f64 v[73:74], v[89:90], v[223:224], v[9:10]
	v_fma_f64 v[75:76], v[91:92], v[223:224], -v[11:12]
	v_fma_f64 v[77:78], v[93:94], v[45:46], v[13:14]
	v_fma_f64 v[79:80], v[95:96], v[45:46], -v[15:16]
	ds_write_b128 v218, v[49:52] offset:32768
	ds_write_b128 v218, v[53:56] offset:40960
	;; [unrolled: 1-line block ×8, first 2 shown]
	s_waitcnt vmcnt(0) lgkmcnt(0)
	s_barrier
	ds_read_b128 v[49:52], v218 offset:32768
	ds_read_b128 v[53:56], v218 offset:40960
	;; [unrolled: 1-line block ×3, first 2 shown]
	ds_read_b128 v[61:64], v218
	ds_read_b128 v[65:68], v218 offset:4096
	ds_read_b128 v[69:72], v218 offset:24576
	ds_read_b128 v[73:76], v218 offset:20480
	s_waitcnt lgkmcnt(4)
	v_add_f64 v[1:2], v[57:58], v[49:50]
	ds_read_b128 v[77:80], v218 offset:28672
	ds_read_b128 v[81:84], v218 offset:36864
	s_waitcnt lgkmcnt(3)
	v_add_f64 v[5:6], v[69:70], v[53:54]
	v_add_f64 v[7:8], v[71:72], v[55:56]
	ds_read_b128 v[85:88], v218 offset:8192
	ds_read_b128 v[89:92], v218 offset:45056
	v_add_f64 v[9:10], v[59:60], -v[51:52]
	v_add_f64 v[11:12], v[71:72], -v[55:56]
	v_fma_f64 v[1:2], v[1:2], -0.5, v[61:62]
	v_add_f64 v[13:14], v[69:70], -v[53:54]
	v_add_f64 v[17:18], v[59:60], v[51:52]
	s_waitcnt lgkmcnt(1)
	v_fma_f64 v[5:6], v[5:6], -0.5, v[85:86]
	v_fma_f64 v[7:8], v[7:8], -0.5, v[87:88]
	v_add_f64 v[3:4], v[61:62], v[57:58]
	v_add_f64 v[27:28], v[87:88], v[71:72]
	v_add_f64 v[21:22], v[63:64], v[59:60]
	v_fma_f64 v[15:16], v[9:10], s[8:9], v[1:2]
	v_fma_f64 v[1:2], v[9:10], s[12:13], v[1:2]
	v_mul_u32_u24_e32 v43, 0x2aab, v193
	v_fma_f64 v[19:20], v[11:12], s[12:13], v[5:6]
	v_fma_f64 v[9:10], v[13:14], s[12:13], v[7:8]
	;; [unrolled: 1-line block ×4, first 2 shown]
	v_fma_f64 v[11:12], v[17:18], -0.5, v[63:64]
	v_add_f64 v[13:14], v[57:58], -v[49:50]
	v_add_f64 v[17:18], v[85:86], v[69:70]
	v_add_f64 v[3:4], v[3:4], v[49:50]
	v_mul_f64 v[25:26], v[19:20], -0.5
	v_mul_f64 v[23:24], v[9:10], s[8:9]
	v_mul_f64 v[31:32], v[7:8], -0.5
	v_mul_f64 v[29:30], v[5:6], s[12:13]
	v_add_f64 v[21:22], v[21:22], v[51:52]
	v_fma_f64 v[33:34], v[13:14], s[12:13], v[11:12]
	v_add_f64 v[17:18], v[17:18], v[53:54]
	v_fma_f64 v[11:12], v[13:14], s[8:9], v[11:12]
	v_fma_f64 v[7:8], v[7:8], s[8:9], v[25:26]
	s_waitcnt lgkmcnt(0)
	v_add_f64 v[25:26], v[77:78], v[89:90]
	v_fma_f64 v[13:14], v[19:20], s[12:13], v[31:32]
	v_add_f64 v[19:20], v[73:74], v[81:82]
	v_fma_f64 v[5:6], v[5:6], 0.5, v[23:24]
	v_add_f64 v[23:24], v[27:28], v[55:56]
	v_add_f64 v[27:28], v[79:80], v[91:92]
	ds_read_b128 v[49:52], v218 offset:12288
	v_add_f64 v[53:54], v[3:4], v[17:18]
	v_add_f64 v[61:62], v[1:2], v[7:8]
	v_add_f64 v[69:70], v[3:4], -v[17:18]
	v_add_f64 v[93:94], v[1:2], -v[7:8]
	v_fma_f64 v[3:4], v[19:20], -0.5, v[65:66]
	s_waitcnt lgkmcnt(0)
	v_fma_f64 v[7:8], v[25:26], -0.5, v[49:50]
	v_add_f64 v[19:20], v[79:80], -v[91:92]
	v_add_f64 v[57:58], v[15:16], v[5:6]
	v_add_f64 v[85:86], v[15:16], -v[5:6]
	v_add_f64 v[5:6], v[75:76], -v[83:84]
	v_fma_f64 v[15:16], v[27:28], -0.5, v[51:52]
	v_add_f64 v[17:18], v[77:78], -v[89:90]
	v_add_f64 v[55:56], v[21:22], v[23:24]
	v_add_f64 v[71:72], v[21:22], -v[23:24]
	v_add_f64 v[23:24], v[67:68], v[75:76]
	v_add_f64 v[25:26], v[75:76], v[83:84]
	v_fma_f64 v[27:28], v[19:20], s[12:13], v[7:8]
	v_fma_f64 v[7:8], v[19:20], s[8:9], v[7:8]
	;; [unrolled: 1-line block ×6, first 2 shown]
	v_add_f64 v[1:2], v[65:66], v[73:74]
	v_add_f64 v[19:20], v[23:24], v[83:84]
	;; [unrolled: 1-line block ×3, first 2 shown]
	v_fma_f64 v[25:26], v[25:26], -0.5, v[67:68]
	v_add_f64 v[17:18], v[73:74], -v[81:82]
	v_add_f64 v[35:36], v[51:52], v[79:80]
	v_mul_f64 v[37:38], v[7:8], s[12:13]
	v_fma_f64 v[9:10], v[9:10], 0.5, v[29:30]
	v_mul_f64 v[29:30], v[5:6], s[8:9]
	v_mul_f64 v[31:32], v[27:28], -0.5
	v_mul_f64 v[39:40], v[15:16], -0.5
	v_add_f64 v[1:2], v[1:2], v[81:82]
	v_add_f64 v[23:24], v[23:24], v[89:90]
	v_fma_f64 v[41:42], v[17:18], s[12:13], v[25:26]
	v_fma_f64 v[17:18], v[17:18], s[8:9], v[25:26]
	v_add_f64 v[25:26], v[35:36], v[91:92]
	v_fma_f64 v[5:6], v[5:6], 0.5, v[37:38]
	v_fma_f64 v[7:8], v[7:8], 0.5, v[29:30]
	v_fma_f64 v[15:16], v[15:16], s[8:9], v[31:32]
	v_fma_f64 v[27:28], v[27:28], s[12:13], v[39:40]
	v_add_f64 v[49:50], v[1:2], v[23:24]
	v_add_f64 v[77:78], v[1:2], -v[23:24]
	v_mul_u32_u24_e32 v1, 6, v0
	v_add_f64 v[51:52], v[19:20], v[25:26]
	v_add_f64 v[67:68], v[41:42], v[5:6]
	v_add_f64 v[83:84], v[41:42], -v[5:6]
	v_lshlrev_b32_e32 v232, 4, v1
	v_mul_u32_u24_e32 v1, 6, v193
	v_lshrrev_b16_e32 v41, 10, v121
	v_add_f64 v[59:60], v[33:34], v[9:10]
	v_add_f64 v[65:66], v[21:22], v[7:8]
	v_lshlrev_b32_e32 v231, 4, v1
	v_mul_lo_u16_e32 v1, 6, v41
	v_add_f64 v[63:64], v[11:12], v[13:14]
	v_add_f64 v[73:74], v[3:4], v[15:16]
	;; [unrolled: 1-line block ×3, first 2 shown]
	v_sub_u16_e32 v1, v0, v1
	v_add_f64 v[79:80], v[19:20], -v[25:26]
	v_and_b32_e32 v42, 0xff, v1
	v_add_f64 v[87:88], v[33:34], -v[9:10]
	v_add_f64 v[81:82], v[21:22], -v[7:8]
	v_mad_u64_u32 v[1:2], s[14:15], v42, 48, s[10:11]
	v_add_f64 v[95:96], v[11:12], -v[13:14]
	v_add_f64 v[89:90], v[3:4], -v[15:16]
	;; [unrolled: 1-line block ×3, first 2 shown]
	s_barrier
	ds_write_b128 v232, v[53:56]
	ds_write_b128 v232, v[57:60] offset:16
	ds_write_b128 v232, v[61:64] offset:32
	;; [unrolled: 1-line block ×5, first 2 shown]
	ds_write_b128 v231, v[49:52]
	ds_write_b128 v231, v[65:68] offset:16
	ds_write_b128 v231, v[73:76] offset:32
	;; [unrolled: 1-line block ×5, first 2 shown]
	s_waitcnt lgkmcnt(0)
	s_barrier
	global_load_dwordx4 v[49:52], v[1:2], off offset:32
	global_load_dwordx4 v[53:56], v[1:2], off offset:16
	global_load_dwordx4 v[57:60], v[1:2], off
	v_mov_b32_e32 v3, 6
	v_mul_lo_u16_sdwa v1, v43, v3 dst_sel:DWORD dst_unused:UNUSED_PAD src0_sel:WORD_1 src1_sel:DWORD
	v_sub_u16_e32 v44, v193, v1
	v_mul_lo_u16_e32 v1, 48, v44
	v_add_co_u32_e32 v1, vcc, s10, v1
	v_addc_co_u32_e32 v2, vcc, 0, v195, vcc
	global_load_dwordx4 v[73:76], v[1:2], off
	global_load_dwordx4 v[65:68], v[1:2], off offset:16
	global_load_dwordx4 v[61:64], v[1:2], off offset:32
	v_mul_lo_u16_sdwa v1, v134, v3 dst_sel:DWORD dst_unused:UNUSED_PAD src0_sel:WORD_1 src1_sel:DWORD
	v_sub_u16_e32 v135, v145, v1
	v_mul_lo_u16_e32 v1, 48, v135
	v_add_co_u32_e32 v1, vcc, s10, v1
	v_addc_co_u32_e32 v2, vcc, 0, v195, vcc
	global_load_dwordx4 v[81:84], v[1:2], off
	global_load_dwordx4 v[77:80], v[1:2], off offset:16
	global_load_dwordx4 v[69:72], v[1:2], off offset:32
	ds_read_b128 v[85:88], v218
	ds_read_b128 v[89:92], v218 offset:4096
	ds_read_b128 v[93:96], v218 offset:24576
	;; [unrolled: 1-line block ×11, first 2 shown]
	s_waitcnt vmcnt(0) lgkmcnt(0)
	s_barrier
	v_mul_f64 v[9:10], v[119:120], v[51:52]
	v_mul_f64 v[5:6], v[95:96], v[55:56]
	v_mul_f64 v[1:2], v[103:104], v[59:60]
	v_mul_f64 v[3:4], v[101:102], v[59:60]
	v_mul_f64 v[7:8], v[93:94], v[55:56]
	v_mul_f64 v[11:12], v[117:118], v[51:52]
	v_fma_f64 v[9:10], v[117:118], v[49:50], -v[9:10]
	v_fma_f64 v[5:6], v[93:94], v[53:54], -v[5:6]
	;; [unrolled: 1-line block ×3, first 2 shown]
	v_fma_f64 v[3:4], v[103:104], v[57:58], v[3:4]
	v_fma_f64 v[7:8], v[95:96], v[53:54], v[7:8]
	;; [unrolled: 1-line block ×3, first 2 shown]
	v_mul_f64 v[13:14], v[111:112], v[75:76]
	v_mul_f64 v[15:16], v[109:110], v[75:76]
	;; [unrolled: 1-line block ×3, first 2 shown]
	v_add_f64 v[5:6], v[85:86], -v[5:6]
	v_add_f64 v[9:10], v[1:2], -v[9:10]
	v_mul_f64 v[19:20], v[97:98], v[67:68]
	v_add_f64 v[7:8], v[87:88], -v[7:8]
	v_add_f64 v[11:12], v[3:4], -v[11:12]
	v_mul_f64 v[21:22], v[128:129], v[63:64]
	v_mul_f64 v[23:24], v[126:127], v[63:64]
	;; [unrolled: 1-line block ×3, first 2 shown]
	v_fma_f64 v[25:26], v[85:86], 2.0, -v[5:6]
	v_fma_f64 v[1:2], v[1:2], 2.0, -v[9:10]
	v_mul_f64 v[31:32], v[113:114], v[83:84]
	v_fma_f64 v[27:28], v[87:88], 2.0, -v[7:8]
	v_fma_f64 v[3:4], v[3:4], 2.0, -v[11:12]
	v_mul_f64 v[33:34], v[124:125], v[79:80]
	v_mul_f64 v[35:36], v[122:123], v[79:80]
	;; [unrolled: 1-line block ×4, first 2 shown]
	v_fma_f64 v[13:14], v[109:110], v[73:74], -v[13:14]
	v_fma_f64 v[15:16], v[111:112], v[73:74], v[15:16]
	v_fma_f64 v[17:18], v[97:98], v[65:66], -v[17:18]
	v_fma_f64 v[19:20], v[99:100], v[65:66], v[19:20]
	;; [unrolled: 2-line block ×3, first 2 shown]
	v_add_f64 v[85:86], v[25:26], -v[1:2]
	v_add_f64 v[87:88], v[27:28], -v[3:4]
	v_fma_f64 v[1:2], v[113:114], v[81:82], -v[29:30]
	v_fma_f64 v[3:4], v[115:116], v[81:82], v[31:32]
	v_fma_f64 v[29:30], v[122:123], v[77:78], -v[33:34]
	v_fma_f64 v[31:32], v[124:125], v[77:78], v[35:36]
	;; [unrolled: 2-line block ×3, first 2 shown]
	v_fma_f64 v[93:94], v[25:26], 2.0, -v[85:86]
	v_fma_f64 v[95:96], v[27:28], 2.0, -v[87:88]
	v_add_f64 v[97:98], v[5:6], -v[11:12]
	v_add_f64 v[99:100], v[7:8], v[9:10]
	v_add_f64 v[9:10], v[89:90], -v[17:18]
	v_add_f64 v[11:12], v[91:92], -v[19:20]
	;; [unrolled: 1-line block ×8, first 2 shown]
	v_fma_f64 v[29:30], v[89:90], 2.0, -v[9:10]
	v_fma_f64 v[31:32], v[91:92], 2.0, -v[11:12]
	;; [unrolled: 1-line block ×8, first 2 shown]
	v_add_f64 v[105:106], v[9:10], -v[19:20]
	v_add_f64 v[107:108], v[11:12], v[17:18]
	v_add_f64 v[101:102], v[29:30], -v[13:14]
	v_add_f64 v[103:104], v[31:32], -v[15:16]
	;; [unrolled: 1-line block ×3, first 2 shown]
	v_add_f64 v[115:116], v[23:24], v[25:26]
	v_add_f64 v[109:110], v[33:34], -v[1:2]
	v_add_f64 v[111:112], v[35:36], -v[3:4]
	v_fma_f64 v[89:90], v[5:6], 2.0, -v[97:98]
	v_fma_f64 v[91:92], v[7:8], 2.0, -v[99:100]
	;; [unrolled: 1-line block ×10, first 2 shown]
	v_mul_u32_u24_e32 v1, 24, v41
	v_or_b32_e32 v1, v1, v42
	v_mov_b32_e32 v3, 24
	v_lshlrev_b32_e32 v217, 4, v1
	v_mul_lo_u16_sdwa v1, v43, v3 dst_sel:DWORD dst_unused:UNUSED_PAD src0_sel:WORD_1 src1_sel:DWORD
	v_or_b32_e32 v1, v1, v44
	v_lshlrev_b32_sdwa v255, v157, v1 dst_sel:DWORD dst_unused:UNUSED_PAD src0_sel:DWORD src1_sel:WORD_0
	v_mul_lo_u16_sdwa v1, v134, v3 dst_sel:DWORD dst_unused:UNUSED_PAD src0_sel:WORD_1 src1_sel:DWORD
	v_or_b32_e32 v1, v1, v135
	v_lshlrev_b32_sdwa v1, v157, v1 dst_sel:DWORD dst_unused:UNUSED_PAD src0_sel:DWORD src1_sel:WORD_0
	v_lshrrev_b16_e32 v41, 12, v121
	ds_write_b128 v217, v[93:96]
	ds_write_b128 v217, v[89:92] offset:96
	ds_write_b128 v217, v[85:88] offset:192
	;; [unrolled: 1-line block ×3, first 2 shown]
	ds_write_b128 v255, v[117:120]
	ds_write_b128 v255, v[122:125] offset:96
	ds_write_b128 v255, v[101:104] offset:192
	;; [unrolled: 1-line block ×3, first 2 shown]
	buffer_store_dword v1, off, s[20:23], 0 offset:144 ; 4-byte Folded Spill
	ds_write_b128 v1, v[126:129]
	ds_write_b128 v1, v[130:133] offset:96
	ds_write_b128 v1, v[109:112] offset:192
	;; [unrolled: 1-line block ×3, first 2 shown]
	v_mul_lo_u16_e32 v1, 24, v41
	v_sub_u16_e32 v1, v0, v1
	v_and_b32_e32 v42, 0xff, v1
	v_mad_u64_u32 v[1:2], s[14:15], v42, 48, s[10:11]
	s_waitcnt vmcnt(0) lgkmcnt(0)
	s_barrier
	global_load_dwordx4 v[85:88], v[1:2], off offset:320
	global_load_dwordx4 v[89:92], v[1:2], off offset:304
	;; [unrolled: 1-line block ×3, first 2 shown]
	v_mul_u32_u24_e32 v43, 0xaab, v193
	v_mul_lo_u16_sdwa v1, v43, v3 dst_sel:DWORD dst_unused:UNUSED_PAD src0_sel:WORD_1 src1_sel:DWORD
	v_sub_u16_e32 v44, v193, v1
	v_mul_lo_u16_e32 v1, 48, v44
	v_add_co_u32_e32 v1, vcc, s10, v1
	v_addc_co_u32_e32 v2, vcc, 0, v195, vcc
	global_load_dwordx4 v[105:108], v[1:2], off offset:288
	global_load_dwordx4 v[101:104], v[1:2], off offset:304
	;; [unrolled: 1-line block ×3, first 2 shown]
	v_mul_lo_u16_sdwa v1, v142, v3 dst_sel:DWORD dst_unused:UNUSED_PAD src0_sel:WORD_1 src1_sel:DWORD
	v_sub_u16_e32 v143, v145, v1
	v_mul_lo_u16_e32 v1, 48, v143
	v_add_co_u32_e32 v1, vcc, s10, v1
	v_addc_co_u32_e32 v2, vcc, 0, v195, vcc
	global_load_dwordx4 v[117:120], v[1:2], off offset:288
	global_load_dwordx4 v[113:116], v[1:2], off offset:304
	;; [unrolled: 1-line block ×3, first 2 shown]
	ds_read_b128 v[122:125], v218
	ds_read_b128 v[126:129], v218 offset:4096
	ds_read_b128 v[130:133], v218 offset:24576
	;; [unrolled: 1-line block ×11, first 2 shown]
	s_movk_i32 s14, 0x60
	s_waitcnt vmcnt(0) lgkmcnt(0)
	s_barrier
	v_mul_f64 v[9:10], v[164:165], v[87:88]
	v_mul_f64 v[5:6], v[132:133], v[91:92]
	;; [unrolled: 1-line block ×6, first 2 shown]
	v_fma_f64 v[9:10], v[162:163], v[85:86], -v[9:10]
	v_fma_f64 v[5:6], v[130:131], v[89:90], -v[5:6]
	v_fma_f64 v[1:2], v[138:139], v[93:94], -v[1:2]
	v_fma_f64 v[3:4], v[140:141], v[93:94], v[3:4]
	v_fma_f64 v[7:8], v[132:133], v[89:90], v[7:8]
	;; [unrolled: 1-line block ×3, first 2 shown]
	v_mul_f64 v[13:14], v[152:153], v[107:108]
	v_mul_f64 v[15:16], v[150:151], v[107:108]
	;; [unrolled: 1-line block ×3, first 2 shown]
	v_add_f64 v[5:6], v[122:123], -v[5:6]
	v_add_f64 v[9:10], v[1:2], -v[9:10]
	v_mul_f64 v[19:20], v[134:135], v[103:104]
	v_add_f64 v[7:8], v[124:125], -v[7:8]
	v_add_f64 v[11:12], v[3:4], -v[11:12]
	v_mul_f64 v[21:22], v[172:173], v[99:100]
	v_mul_f64 v[23:24], v[170:171], v[99:100]
	;; [unrolled: 1-line block ×3, first 2 shown]
	v_fma_f64 v[25:26], v[122:123], 2.0, -v[5:6]
	v_fma_f64 v[1:2], v[1:2], 2.0, -v[9:10]
	v_mul_f64 v[31:32], v[158:159], v[119:120]
	v_fma_f64 v[27:28], v[124:125], 2.0, -v[7:8]
	v_fma_f64 v[3:4], v[3:4], 2.0, -v[11:12]
	v_mul_f64 v[33:34], v[168:169], v[115:116]
	v_mul_f64 v[35:36], v[166:167], v[115:116]
	;; [unrolled: 1-line block ×4, first 2 shown]
	v_fma_f64 v[13:14], v[150:151], v[105:106], -v[13:14]
	v_fma_f64 v[15:16], v[152:153], v[105:106], v[15:16]
	v_fma_f64 v[17:18], v[134:135], v[101:102], -v[17:18]
	v_fma_f64 v[19:20], v[136:137], v[101:102], v[19:20]
	;; [unrolled: 2-line block ×3, first 2 shown]
	v_add_f64 v[122:123], v[25:26], -v[1:2]
	v_add_f64 v[124:125], v[27:28], -v[3:4]
	v_fma_f64 v[1:2], v[158:159], v[117:118], -v[29:30]
	v_fma_f64 v[3:4], v[160:161], v[117:118], v[31:32]
	v_fma_f64 v[29:30], v[166:167], v[113:114], -v[33:34]
	v_fma_f64 v[31:32], v[168:169], v[113:114], v[35:36]
	;; [unrolled: 2-line block ×3, first 2 shown]
	v_fma_f64 v[130:131], v[25:26], 2.0, -v[122:123]
	v_fma_f64 v[132:133], v[27:28], 2.0, -v[124:125]
	v_add_f64 v[134:135], v[5:6], -v[11:12]
	v_add_f64 v[136:137], v[7:8], v[9:10]
	v_add_f64 v[9:10], v[126:127], -v[17:18]
	v_add_f64 v[11:12], v[128:129], -v[19:20]
	;; [unrolled: 1-line block ×8, first 2 shown]
	v_fma_f64 v[29:30], v[126:127], 2.0, -v[9:10]
	v_fma_f64 v[31:32], v[128:129], 2.0, -v[11:12]
	;; [unrolled: 1-line block ×10, first 2 shown]
	v_add_f64 v[138:139], v[29:30], -v[13:14]
	v_add_f64 v[140:141], v[31:32], -v[15:16]
	;; [unrolled: 1-line block ×3, first 2 shown]
	v_add_f64 v[148:149], v[11:12], v[17:18]
	v_add_f64 v[150:151], v[33:34], -v[1:2]
	v_add_f64 v[152:153], v[35:36], -v[3:4]
	;; [unrolled: 1-line block ×3, first 2 shown]
	v_add_f64 v[160:161], v[23:24], v[25:26]
	v_mul_u32_u24_e32 v1, 0x60, v41
	v_or_b32_e32 v1, v1, v42
	v_lshlrev_b32_e32 v1, 4, v1
	buffer_store_dword v1, off, s[20:23], 0 offset:148 ; 4-byte Folded Spill
	ds_write_b128 v1, v[130:133]
	ds_write_b128 v1, v[126:129] offset:384
	ds_write_b128 v1, v[122:125] offset:768
	;; [unrolled: 1-line block ×3, first 2 shown]
	v_mul_lo_u16_sdwa v1, v43, s14 dst_sel:DWORD dst_unused:UNUSED_PAD src0_sel:WORD_1 src1_sel:DWORD
	v_or_b32_e32 v1, v1, v44
	v_lshlrev_b32_sdwa v237, v157, v1 dst_sel:DWORD dst_unused:UNUSED_PAD src0_sel:DWORD src1_sel:WORD_0
	v_mul_lo_u16_sdwa v1, v142, s14 dst_sel:DWORD dst_unused:UNUSED_PAD src0_sel:WORD_1 src1_sel:DWORD
	v_fma_f64 v[162:163], v[29:30], 2.0, -v[138:139]
	v_fma_f64 v[164:165], v[31:32], 2.0, -v[140:141]
	;; [unrolled: 1-line block ×4, first 2 shown]
	v_or_b32_e32 v1, v1, v143
	v_lshrrev_b16_e32 v41, 14, v121
	v_fma_f64 v[166:167], v[9:10], 2.0, -v[146:147]
	v_fma_f64 v[168:169], v[11:12], 2.0, -v[148:149]
	;; [unrolled: 1-line block ×4, first 2 shown]
	v_lshlrev_b32_sdwa v238, v157, v1 dst_sel:DWORD dst_unused:UNUSED_PAD src0_sel:DWORD src1_sel:WORD_0
	v_mul_lo_u16_e32 v1, 0x60, v41
	v_sub_u16_e32 v1, v0, v1
	v_and_b32_e32 v42, 0xff, v1
	v_mad_u64_u32 v[1:2], s[16:17], v42, 48, s[10:11]
	ds_write_b128 v237, v[162:165]
	ds_write_b128 v237, v[166:169] offset:384
	ds_write_b128 v237, v[138:141] offset:768
	;; [unrolled: 1-line block ×3, first 2 shown]
	ds_write_b128 v238, v[170:173]
	ds_write_b128 v238, v[174:177] offset:384
	ds_write_b128 v238, v[150:153] offset:768
	ds_write_b128 v238, v[158:161] offset:1152
	s_waitcnt vmcnt(0) lgkmcnt(0)
	s_barrier
	global_load_dwordx4 v[129:132], v[1:2], off offset:1440
	global_load_dwordx4 v[125:128], v[1:2], off offset:1456
	;; [unrolled: 1-line block ×3, first 2 shown]
	v_mul_u32_u24_e32 v43, 0x2ab, v193
	v_mul_lo_u16_sdwa v1, v43, s14 dst_sel:DWORD dst_unused:UNUSED_PAD src0_sel:WORD_1 src1_sel:DWORD
	v_sub_u16_e32 v44, v193, v1
	v_mul_lo_u16_e32 v1, 48, v44
	v_add_co_u32_e32 v1, vcc, s10, v1
	v_addc_co_u32_e32 v2, vcc, 0, v195, vcc
	global_load_dwordx4 v[141:144], v[1:2], off offset:1440
	global_load_dwordx4 v[137:140], v[1:2], off offset:1456
	;; [unrolled: 1-line block ×3, first 2 shown]
	v_mul_lo_u16_sdwa v1, v190, s14 dst_sel:DWORD dst_unused:UNUSED_PAD src0_sel:WORD_1 src1_sel:DWORD
	v_sub_u16_e32 v191, v145, v1
	v_mul_lo_u16_e32 v1, 48, v191
	v_add_co_u32_e32 v1, vcc, s10, v1
	v_addc_co_u32_e32 v2, vcc, 0, v195, vcc
	global_load_dwordx4 v[153:156], v[1:2], off offset:1440
	global_load_dwordx4 v[149:152], v[1:2], off offset:1456
	;; [unrolled: 1-line block ×3, first 2 shown]
	ds_read_b128 v[158:161], v218 offset:12288
	ds_read_b128 v[162:165], v218
	ds_read_b128 v[166:169], v218 offset:24576
	ds_read_b128 v[170:173], v218 offset:28672
	;; [unrolled: 1-line block ×6, first 2 shown]
	s_movk_i32 s14, 0x180
	s_movk_i32 s16, 0x1000
	s_waitcnt vmcnt(8) lgkmcnt(7)
	v_mul_f64 v[1:2], v[160:161], v[131:132]
	v_mul_f64 v[3:4], v[158:159], v[131:132]
	s_waitcnt vmcnt(7) lgkmcnt(5)
	v_mul_f64 v[5:6], v[168:169], v[127:128]
	v_mul_f64 v[7:8], v[166:167], v[127:128]
	s_waitcnt vmcnt(6) lgkmcnt(1)
	v_mul_f64 v[9:10], v[184:185], v[123:124]
	v_mul_f64 v[11:12], v[182:183], v[123:124]
	v_fma_f64 v[1:2], v[158:159], v[129:130], -v[1:2]
	v_fma_f64 v[3:4], v[160:161], v[129:130], v[3:4]
	v_fma_f64 v[5:6], v[166:167], v[125:126], -v[5:6]
	v_fma_f64 v[7:8], v[168:169], v[125:126], v[7:8]
	v_fma_f64 v[9:10], v[182:183], v[121:122], -v[9:10]
	v_fma_f64 v[11:12], v[184:185], v[121:122], v[11:12]
	ds_read_b128 v[158:161], v218 offset:40960
	ds_read_b128 v[196:199], v218 offset:45056
	s_waitcnt vmcnt(5)
	v_mul_f64 v[13:14], v[176:177], v[143:144]
	v_mul_f64 v[15:16], v[174:175], v[143:144]
	s_waitcnt vmcnt(4)
	v_mul_f64 v[17:18], v[172:173], v[139:140]
	v_add_f64 v[5:6], v[162:163], -v[5:6]
	v_add_f64 v[7:8], v[164:165], -v[7:8]
	;; [unrolled: 1-line block ×4, first 2 shown]
	v_mul_f64 v[19:20], v[170:171], v[139:140]
	s_waitcnt vmcnt(3) lgkmcnt(1)
	v_mul_f64 v[21:22], v[160:161], v[135:136]
	v_mul_f64 v[23:24], v[158:159], v[135:136]
	s_waitcnt vmcnt(2)
	v_mul_f64 v[29:30], v[180:181], v[155:156]
	v_fma_f64 v[25:26], v[162:163], 2.0, -v[5:6]
	v_fma_f64 v[27:28], v[164:165], 2.0, -v[7:8]
	;; [unrolled: 1-line block ×4, first 2 shown]
	v_mul_f64 v[31:32], v[178:179], v[155:156]
	s_waitcnt vmcnt(1)
	v_mul_f64 v[33:34], v[188:189], v[151:152]
	v_mul_f64 v[35:36], v[186:187], v[151:152]
	s_waitcnt vmcnt(0) lgkmcnt(0)
	v_mul_f64 v[37:38], v[198:199], v[147:148]
	v_mul_f64 v[39:40], v[196:197], v[147:148]
	v_fma_f64 v[13:14], v[174:175], v[141:142], -v[13:14]
	v_fma_f64 v[15:16], v[176:177], v[141:142], v[15:16]
	v_fma_f64 v[17:18], v[170:171], v[137:138], -v[17:18]
	v_fma_f64 v[19:20], v[172:173], v[137:138], v[19:20]
	;; [unrolled: 2-line block ×3, first 2 shown]
	v_add_f64 v[158:159], v[25:26], -v[1:2]
	v_add_f64 v[160:161], v[27:28], -v[3:4]
	v_fma_f64 v[1:2], v[178:179], v[153:154], -v[29:30]
	v_fma_f64 v[3:4], v[180:181], v[153:154], v[31:32]
	v_fma_f64 v[29:30], v[186:187], v[149:150], -v[33:34]
	v_fma_f64 v[31:32], v[188:189], v[149:150], v[35:36]
	v_fma_f64 v[33:34], v[196:197], v[145:146], -v[37:38]
	v_fma_f64 v[35:36], v[198:199], v[145:146], v[39:40]
	ds_read_b128 v[162:165], v218 offset:4096
	ds_read_b128 v[166:169], v218 offset:8192
	v_fma_f64 v[170:171], v[25:26], 2.0, -v[158:159]
	v_fma_f64 v[172:173], v[27:28], 2.0, -v[160:161]
	v_add_f64 v[174:175], v[5:6], -v[11:12]
	v_add_f64 v[176:177], v[7:8], v[9:10]
	s_waitcnt lgkmcnt(1)
	v_add_f64 v[9:10], v[162:163], -v[17:18]
	v_add_f64 v[11:12], v[164:165], -v[19:20]
	;; [unrolled: 1-line block ×4, first 2 shown]
	s_waitcnt lgkmcnt(0)
	v_add_f64 v[21:22], v[166:167], -v[29:30]
	v_add_f64 v[23:24], v[168:169], -v[31:32]
	v_add_f64 v[25:26], v[1:2], -v[33:34]
	v_add_f64 v[27:28], v[3:4], -v[35:36]
	v_fma_f64 v[29:30], v[162:163], 2.0, -v[9:10]
	v_fma_f64 v[31:32], v[164:165], 2.0, -v[11:12]
	;; [unrolled: 1-line block ×8, first 2 shown]
	v_add_f64 v[178:179], v[9:10], -v[19:20]
	v_add_f64 v[180:181], v[11:12], v[17:18]
	v_add_f64 v[166:167], v[29:30], -v[13:14]
	v_add_f64 v[168:169], v[31:32], -v[15:16]
	;; [unrolled: 1-line block ×3, first 2 shown]
	v_add_f64 v[188:189], v[23:24], v[25:26]
	v_add_f64 v[182:183], v[33:34], -v[1:2]
	v_add_f64 v[184:185], v[35:36], -v[3:4]
	v_mul_u32_u24_e32 v1, 0x180, v41
	v_or_b32_e32 v1, v1, v42
	v_lshlrev_b32_e32 v239, 4, v1
	v_mul_lo_u16_sdwa v1, v43, s14 dst_sel:DWORD dst_unused:UNUSED_PAD src0_sel:WORD_1 src1_sel:DWORD
	v_or_b32_e32 v1, v1, v44
	v_lshlrev_b32_sdwa v240, v157, v1 dst_sel:DWORD dst_unused:UNUSED_PAD src0_sel:DWORD src1_sel:WORD_0
	v_mul_lo_u16_sdwa v1, v190, s14 dst_sel:DWORD dst_unused:UNUSED_PAD src0_sel:WORD_1 src1_sel:DWORD
	v_or_b32_e32 v1, v1, v191
	v_fma_f64 v[196:197], v[29:30], 2.0, -v[166:167]
	v_fma_f64 v[198:199], v[31:32], 2.0, -v[168:169]
	;; [unrolled: 1-line block ×4, first 2 shown]
	v_lshlrev_b32_sdwa v241, v157, v1 dst_sel:DWORD dst_unused:UNUSED_PAD src0_sel:DWORD src1_sel:WORD_0
	v_mad_u64_u32 v[1:2], s[14:15], v0, 48, s[10:11]
	v_fma_f64 v[162:163], v[5:6], 2.0, -v[174:175]
	v_fma_f64 v[164:165], v[7:8], 2.0, -v[176:177]
	;; [unrolled: 1-line block ×6, first 2 shown]
	s_movk_i32 s11, 0x17a0
	v_add_co_u32_e32 v3, vcc, s11, v1
	v_addc_co_u32_e32 v4, vcc, 0, v2, vcc
	v_add_co_u32_e32 v5, vcc, s16, v1
	v_addc_co_u32_e32 v6, vcc, 0, v2, vcc
	s_barrier
	ds_write_b128 v239, v[170:173]
	ds_write_b128 v239, v[162:165] offset:1536
	ds_write_b128 v239, v[158:161] offset:3072
	ds_write_b128 v239, v[174:177] offset:4608
	ds_write_b128 v240, v[196:199]
	ds_write_b128 v240, v[200:203] offset:1536
	ds_write_b128 v240, v[166:169] offset:3072
	ds_write_b128 v240, v[178:181] offset:4608
	;; [unrolled: 4-line block ×3, first 2 shown]
	s_waitcnt lgkmcnt(0)
	s_barrier
	global_load_dwordx4 v[157:160], v[5:6], off offset:1952
	global_load_dwordx4 v[161:164], v[3:4], off offset:32
	;; [unrolled: 1-line block ×3, first 2 shown]
	s_mov_b64 s[14:15], 0x180
	v_cmp_gt_u64_e32 vcc, s[14:15], v[193:194]
	v_add_u32_e32 v3, 0xffffff80, v0
	v_cndmask_b32_e32 v41, v3, v193, vcc
	v_mul_i32_i24_e32 v4, 48, v41
	v_mul_hi_i32_i24_e32 v3, 48, v41
	v_add_co_u32_e32 v5, vcc, s10, v4
	v_addc_co_u32_e32 v6, vcc, v195, v3, vcc
	v_add_co_u32_e32 v3, vcc, s16, v5
	v_addc_co_u32_e32 v4, vcc, 0, v6, vcc
	global_load_dwordx4 v[177:180], v[3:4], off offset:1952
	v_add_co_u32_e32 v3, vcc, s11, v5
	v_addc_co_u32_e32 v4, vcc, 0, v6, vcc
	global_load_dwordx4 v[173:176], v[3:4], off offset:16
	global_load_dwordx4 v[169:172], v[3:4], off offset:32
	s_movk_i32 s11, 0x2000
	v_add_co_u32_e32 v3, vcc, s11, v1
	v_addc_co_u32_e32 v4, vcc, 0, v2, vcc
	global_load_dwordx4 v[181:184], v[3:4], off offset:4000
	ds_read_b128 v[185:188], v218 offset:12288
	ds_read_b128 v[189:192], v218 offset:24576
	;; [unrolled: 1-line block ×4, first 2 shown]
	s_movk_i32 s11, 0x2fa0
	v_add_co_u32_e32 v1, vcc, s11, v1
	v_addc_co_u32_e32 v2, vcc, 0, v2, vcc
	s_mov_b64 s[14:15], 0x17f
	v_cmp_lt_u64_e32 vcc, s[14:15], v[193:194]
	s_movk_i32 s11, 0x5000
	v_mov_b32_e32 v44, v0
	s_waitcnt vmcnt(6) lgkmcnt(3)
	v_mul_f64 v[3:4], v[187:188], v[159:160]
	v_mul_f64 v[5:6], v[185:186], v[159:160]
	s_waitcnt vmcnt(4) lgkmcnt(2)
	v_mul_f64 v[7:8], v[191:192], v[167:168]
	v_mul_f64 v[9:10], v[189:190], v[167:168]
	v_fma_f64 v[3:4], v[185:186], v[157:158], -v[3:4]
	v_fma_f64 v[5:6], v[187:188], v[157:158], v[5:6]
	v_fma_f64 v[7:8], v[189:190], v[165:166], -v[7:8]
	v_fma_f64 v[9:10], v[191:192], v[165:166], v[9:10]
	ds_read_b128 v[189:192], v218 offset:40960
	ds_read_b128 v[185:188], v218 offset:28672
	s_waitcnt vmcnt(3) lgkmcnt(3)
	v_mul_f64 v[15:16], v[202:203], v[179:180]
	v_mul_f64 v[17:18], v[200:201], v[179:180]
	s_waitcnt vmcnt(2) lgkmcnt(0)
	v_mul_f64 v[19:20], v[187:188], v[175:176]
	s_waitcnt vmcnt(1)
	v_mul_f64 v[23:24], v[191:192], v[171:172]
	v_mul_f64 v[25:26], v[189:190], v[171:172]
	;; [unrolled: 1-line block ×3, first 2 shown]
	v_fma_f64 v[15:16], v[200:201], v[177:178], -v[15:16]
	v_fma_f64 v[17:18], v[202:203], v[177:178], v[17:18]
	v_fma_f64 v[19:20], v[185:186], v[173:174], -v[19:20]
	v_fma_f64 v[23:24], v[189:190], v[169:170], -v[23:24]
	v_fma_f64 v[25:26], v[191:192], v[169:170], v[25:26]
	ds_read_b128 v[189:192], v218 offset:32768
	v_mul_f64 v[11:12], v[198:199], v[163:164]
	v_mul_f64 v[13:14], v[196:197], v[163:164]
	v_fma_f64 v[21:22], v[187:188], v[173:174], v[21:22]
	ds_read_b128 v[185:188], v218 offset:20480
	v_fma_f64 v[11:12], v[196:197], v[161:162], -v[11:12]
	v_fma_f64 v[13:14], v[198:199], v[161:162], v[13:14]
	ds_read_b128 v[196:199], v218 offset:45056
	s_waitcnt vmcnt(0) lgkmcnt(1)
	v_mul_f64 v[27:28], v[187:188], v[183:184]
	v_mul_f64 v[29:30], v[185:186], v[183:184]
	v_add_f64 v[11:12], v[3:4], -v[11:12]
	v_add_f64 v[13:14], v[5:6], -v[13:14]
	v_fma_f64 v[27:28], v[185:186], v[181:182], -v[27:28]
	v_fma_f64 v[29:30], v[187:188], v[181:182], v[29:30]
	global_load_dwordx4 v[185:188], v[1:2], off offset:16
	v_fma_f64 v[3:4], v[3:4], 2.0, -v[11:12]
	v_fma_f64 v[5:6], v[5:6], 2.0, -v[13:14]
	s_waitcnt vmcnt(0)
	v_mul_f64 v[31:32], v[191:192], v[187:188]
	v_mul_f64 v[33:34], v[189:190], v[187:188]
	v_fma_f64 v[31:32], v[189:190], v[185:186], -v[31:32]
	v_fma_f64 v[33:34], v[191:192], v[185:186], v[33:34]
	global_load_dwordx4 v[189:192], v[1:2], off offset:32
	s_waitcnt vmcnt(0) lgkmcnt(0)
	v_mul_f64 v[1:2], v[198:199], v[191:192]
	v_mul_f64 v[35:36], v[196:197], v[191:192]
	v_fma_f64 v[1:2], v[196:197], v[189:190], -v[1:2]
	v_fma_f64 v[35:36], v[198:199], v[189:190], v[35:36]
	ds_read_b128 v[196:199], v218
	ds_read_b128 v[204:207], v218 offset:8192
	ds_read_b128 v[208:211], v218 offset:4096
	s_waitcnt lgkmcnt(0)
	s_barrier
	v_add_f64 v[7:8], v[196:197], -v[7:8]
	v_add_f64 v[9:10], v[198:199], -v[9:10]
	v_add_f64 v[1:2], v[27:28], -v[1:2]
	v_fma_f64 v[37:38], v[196:197], 2.0, -v[7:8]
	v_fma_f64 v[39:40], v[198:199], 2.0, -v[9:10]
	v_add_f64 v[196:197], v[37:38], -v[3:4]
	v_add_f64 v[198:199], v[39:40], -v[5:6]
	;; [unrolled: 1-line block ×4, first 2 shown]
	v_fma_f64 v[200:201], v[37:38], 2.0, -v[196:197]
	v_fma_f64 v[202:203], v[39:40], 2.0, -v[198:199]
	ds_write_b128 v218, v[200:203]
	v_add_f64 v[200:201], v[7:8], -v[13:14]
	v_add_f64 v[202:203], v[9:10], v[11:12]
	v_add_f64 v[11:12], v[15:16], -v[23:24]
	v_add_f64 v[13:14], v[17:18], -v[25:26]
	v_fma_f64 v[212:213], v[7:8], 2.0, -v[200:201]
	v_fma_f64 v[214:215], v[9:10], 2.0, -v[202:203]
	;; [unrolled: 1-line block ×6, first 2 shown]
	ds_write_b128 v218, v[212:215] offset:6144
	ds_write_b128 v218, v[196:199] offset:12288
	;; [unrolled: 1-line block ×3, first 2 shown]
	v_add_f64 v[196:197], v[7:8], -v[15:16]
	v_add_f64 v[198:199], v[9:10], -v[17:18]
	v_fma_f64 v[200:201], v[7:8], 2.0, -v[196:197]
	v_fma_f64 v[202:203], v[9:10], 2.0, -v[198:199]
	v_mov_b32_e32 v7, 0x600
	v_cndmask_b32_e32 v7, 0, v7, vcc
	v_or_b32_e32 v7, v7, v41
	v_lshlrev_b32_e32 v242, 4, v7
	v_add_co_u32_e32 v17, vcc, s10, v218
	v_addc_co_u32_e32 v18, vcc, 0, v195, vcc
	ds_write_b128 v242, v[200:203]
	v_add_f64 v[200:201], v[3:4], -v[13:14]
	v_add_f64 v[202:203], v[5:6], v[11:12]
	v_add_f64 v[11:12], v[29:30], -v[35:36]
	v_fma_f64 v[13:14], v[27:28], 2.0, -v[1:2]
	s_movk_i32 s10, 0x6000
	v_fma_f64 v[208:209], v[3:4], 2.0, -v[200:201]
	v_fma_f64 v[210:211], v[5:6], 2.0, -v[202:203]
	v_add_f64 v[3:4], v[204:205], -v[31:32]
	v_add_f64 v[5:6], v[206:207], -v[33:34]
	v_fma_f64 v[15:16], v[29:30], 2.0, -v[11:12]
	ds_write_b128 v242, v[208:211] offset:6144
	v_fma_f64 v[7:8], v[204:205], 2.0, -v[3:4]
	v_fma_f64 v[9:10], v[206:207], 2.0, -v[5:6]
	v_add_f64 v[208:209], v[3:4], -v[11:12]
	v_add_f64 v[210:211], v[5:6], v[1:2]
	v_add_co_u32_e32 v1, vcc, s11, v17
	v_addc_co_u32_e32 v2, vcc, 0, v18, vcc
	v_add_f64 v[204:205], v[7:8], -v[13:14]
	v_add_f64 v[206:207], v[9:10], -v[15:16]
	v_fma_f64 v[243:244], v[3:4], 2.0, -v[208:209]
	v_fma_f64 v[245:246], v[5:6], 2.0, -v[210:211]
	;; [unrolled: 1-line block ×4, first 2 shown]
	ds_write_b128 v242, v[196:199] offset:12288
	ds_write_b128 v242, v[200:203] offset:18432
	;; [unrolled: 1-line block ×6, first 2 shown]
	s_waitcnt lgkmcnt(0)
	s_barrier
	global_load_dwordx4 v[193:196], v[1:2], off offset:4000
	v_add_co_u32_e32 v1, vcc, s10, v17
	v_addc_co_u32_e32 v2, vcc, 0, v18, vcc
	global_load_dwordx4 v[197:200], v[1:2], off offset:4000
	ds_read_b128 v[201:204], v218 offset:24576
	ds_read_b128 v[205:208], v218 offset:28672
	s_movk_i32 s10, 0x7000
	v_add_co_u32_e32 v9, vcc, s10, v17
	v_addc_co_u32_e32 v10, vcc, 0, v18, vcc
	ds_read_b128 v[209:212], v218 offset:36864
	s_mov_b32 s10, 0x8000
	v_add_co_u32_e32 v13, vcc, s10, v17
	v_addc_co_u32_e32 v14, vcc, 0, v18, vcc
	s_mov_b32 s10, 0x9000
	ds_read_b128 v[213:216], v218 offset:40960
	ds_read_b128 v[243:246], v218 offset:45056
	;; [unrolled: 1-line block ×3, first 2 shown]
	s_waitcnt vmcnt(1) lgkmcnt(5)
	v_mul_f64 v[1:2], v[203:204], v[195:196]
	v_mul_f64 v[3:4], v[201:202], v[195:196]
	s_waitcnt vmcnt(0) lgkmcnt(4)
	v_mul_f64 v[5:6], v[207:208], v[199:200]
	v_mul_f64 v[7:8], v[205:206], v[199:200]
	v_fma_f64 v[1:2], v[201:202], v[193:194], -v[1:2]
	v_fma_f64 v[3:4], v[203:204], v[193:194], v[3:4]
	global_load_dwordx4 v[201:204], v[9:10], off offset:4000
	v_fma_f64 v[5:6], v[205:206], v[197:198], -v[5:6]
	v_fma_f64 v[7:8], v[207:208], v[197:198], v[7:8]
	ds_read_b128 v[205:208], v218 offset:32768
	s_waitcnt lgkmcnt(1)
	v_add_f64 v[219:220], v[251:252], -v[5:6]
	v_add_f64 v[221:222], v[253:254], -v[7:8]
	v_fma_f64 v[251:252], v[251:252], 2.0, -v[219:220]
	v_fma_f64 v[253:254], v[253:254], 2.0, -v[221:222]
	s_waitcnt vmcnt(0) lgkmcnt(0)
	v_mul_f64 v[9:10], v[207:208], v[203:204]
	v_mul_f64 v[11:12], v[205:206], v[203:204]
	v_fma_f64 v[9:10], v[205:206], v[201:202], -v[9:10]
	v_fma_f64 v[11:12], v[207:208], v[201:202], v[11:12]
	global_load_dwordx4 v[205:208], v[13:14], off offset:4000
	s_waitcnt vmcnt(0)
	v_mul_f64 v[15:16], v[209:210], v[207:208]
	v_mul_f64 v[13:14], v[211:212], v[207:208]
	v_fma_f64 v[20:21], v[211:212], v[205:206], v[15:16]
	v_add_co_u32_e32 v15, vcc, s10, v17
	v_addc_co_u32_e32 v16, vcc, 0, v18, vcc
	v_fma_f64 v[13:14], v[209:210], v[205:206], -v[13:14]
	global_load_dwordx4 v[209:212], v[15:16], off offset:4000
	s_mov_b32 s10, 0xa000
	s_waitcnt vmcnt(0)
	v_mul_f64 v[15:16], v[215:216], v[211:212]
	v_fma_f64 v[22:23], v[213:214], v[209:210], -v[15:16]
	v_mul_f64 v[15:16], v[213:214], v[211:212]
	v_fma_f64 v[32:33], v[215:216], v[209:210], v[15:16]
	v_add_co_u32_e32 v15, vcc, s10, v17
	v_addc_co_u32_e32 v16, vcc, 0, v18, vcc
	global_load_dwordx4 v[213:216], v[15:16], off offset:4000
	s_waitcnt vmcnt(0)
	v_mul_f64 v[15:16], v[245:246], v[215:216]
	v_fma_f64 v[34:35], v[243:244], v[213:214], -v[15:16]
	v_mul_f64 v[15:16], v[243:244], v[215:216]
	v_fma_f64 v[36:37], v[245:246], v[213:214], v[15:16]
	ds_read_b128 v[243:246], v218
	s_waitcnt lgkmcnt(0)
	v_add_f64 v[247:248], v[243:244], -v[1:2]
	v_add_f64 v[249:250], v[245:246], -v[3:4]
	ds_read_b128 v[0:3], v218 offset:8192
	s_waitcnt lgkmcnt(0)
	v_add_f64 v[16:17], v[0:1], -v[9:10]
	v_add_f64 v[18:19], v[2:3], -v[11:12]
	v_fma_f64 v[243:244], v[243:244], 2.0, -v[247:248]
	v_fma_f64 v[245:246], v[245:246], 2.0, -v[249:250]
	;; [unrolled: 1-line block ×4, first 2 shown]
	ds_read_b128 v[0:3], v218 offset:12288
	s_waitcnt lgkmcnt(0)
	v_add_f64 v[12:13], v[0:1], -v[13:14]
	v_add_f64 v[14:15], v[2:3], -v[20:21]
	v_fma_f64 v[24:25], v[0:1], 2.0, -v[12:13]
	v_fma_f64 v[26:27], v[2:3], 2.0, -v[14:15]
	ds_read_b128 v[0:3], v218 offset:16384
	s_waitcnt lgkmcnt(0)
	v_add_f64 v[8:9], v[0:1], -v[22:23]
	v_add_f64 v[10:11], v[2:3], -v[32:33]
	v_fma_f64 v[20:21], v[0:1], 2.0, -v[8:9]
	v_fma_f64 v[22:23], v[2:3], 2.0, -v[10:11]
	;; [unrolled: 6-line block ×3, first 2 shown]
	ds_write_b128 v218, v[243:246]
	ds_write_b128 v218, v[247:250] offset:24576
	ds_write_b128 v218, v[251:254] offset:4096
	;; [unrolled: 1-line block ×11, first 2 shown]
	s_waitcnt lgkmcnt(0)
	s_barrier
	global_load_dwordx4 v[0:3], v218, s[6:7]
	ds_read_b128 v[4:7], v218
	ds_read_b128 v[247:250], v218 offset:4096
	ds_read_b128 v[10:13], v218 offset:8192
	;; [unrolled: 1-line block ×7, first 2 shown]
	s_waitcnt vmcnt(0) lgkmcnt(7)
	v_mul_f64 v[8:9], v[6:7], v[2:3]
	v_mul_f64 v[2:3], v[4:5], v[2:3]
	v_fma_f64 v[40:41], v[4:5], v[0:1], -v[8:9]
	v_fma_f64 v[42:43], v[6:7], v[0:1], v[2:3]
	buffer_load_dword v0, off, s[20:23], 0 offset:140 ; 4-byte Folded Reload
	s_waitcnt vmcnt(0)
	global_load_dwordx4 v[6:9], v0, s[6:7]
	s_waitcnt vmcnt(0) lgkmcnt(5)
	v_mul_f64 v[0:1], v[12:13], v[8:9]
	v_mul_f64 v[2:3], v[10:11], v[8:9]
	v_fma_f64 v[36:37], v[10:11], v[6:7], -v[0:1]
	v_or_b32_e32 v0, 0x4000, v218
	v_fma_f64 v[38:39], v[12:13], v[6:7], v[2:3]
	global_load_dwordx4 v[12:15], v0, s[6:7]
	s_waitcnt vmcnt(0) lgkmcnt(3)
	v_mul_f64 v[0:1], v[18:19], v[14:15]
	v_mul_f64 v[2:3], v[16:17], v[14:15]
	v_fma_f64 v[32:33], v[16:17], v[12:13], -v[0:1]
	v_or_b32_e32 v0, 0x6000, v218
	v_fma_f64 v[34:35], v[18:19], v[12:13], v[2:3]
	global_load_dwordx4 v[18:21], v0, s[6:7]
	s_waitcnt vmcnt(0) lgkmcnt(2)
	v_mul_f64 v[0:1], v[24:25], v[20:21]
	v_mul_f64 v[2:3], v[22:23], v[20:21]
	v_fma_f64 v[20:21], v[22:23], v[18:19], -v[0:1]
	v_or_b32_e32 v0, 0x8000, v218
	v_fma_f64 v[22:23], v[24:25], v[18:19], v[2:3]
	global_load_dwordx4 v[24:27], v0, s[6:7]
	s_waitcnt vmcnt(0) lgkmcnt(1)
	v_mul_f64 v[0:1], v[30:31], v[26:27]
	v_mul_f64 v[2:3], v[28:29], v[26:27]
	v_fma_f64 v[26:27], v[28:29], v[24:25], -v[0:1]
	v_or_b32_e32 v0, 0xa000, v218
	global_load_dwordx4 v[219:222], v0, s[6:7]
	v_fma_f64 v[28:29], v[30:31], v[24:25], v[2:3]
	s_waitcnt vmcnt(0) lgkmcnt(0)
	v_mul_f64 v[0:1], v[245:246], v[221:222]
	v_mul_f64 v[2:3], v[243:244], v[221:222]
	v_fma_f64 v[243:244], v[243:244], v[219:220], -v[0:1]
	buffer_load_dword v0, off, s[20:23], 0 offset:136 ; 4-byte Folded Reload
	v_fma_f64 v[245:246], v[245:246], v[219:220], v[2:3]
	s_waitcnt vmcnt(0)
	global_load_dwordx4 v[219:222], v0, s[6:7]
	s_waitcnt vmcnt(0)
	v_mul_f64 v[0:1], v[249:250], v[221:222]
	v_mul_f64 v[2:3], v[247:248], v[221:222]
	v_fma_f64 v[247:248], v[247:248], v[219:220], -v[0:1]
	v_or_b32_e32 v0, 0x3000, v218
	v_fma_f64 v[249:250], v[249:250], v[219:220], v[2:3]
	global_load_dwordx4 v[219:222], v0, s[6:7]
	s_waitcnt vmcnt(0)
	v_mul_f64 v[0:1], v[253:254], v[221:222]
	v_mul_f64 v[2:3], v[251:252], v[221:222]
	v_fma_f64 v[251:252], v[251:252], v[219:220], -v[0:1]
	v_or_b32_e32 v0, 0x5000, v218
	v_fma_f64 v[253:254], v[253:254], v[219:220], v[2:3]
	global_load_dwordx4 v[219:222], v0, s[6:7]
	ds_read_b128 v[0:3], v218 offset:20480
	s_waitcnt vmcnt(0) lgkmcnt(0)
	v_mul_f64 v[4:5], v[2:3], v[221:222]
	v_mul_f64 v[6:7], v[0:1], v[221:222]
	v_fma_f64 v[12:13], v[0:1], v[219:220], -v[4:5]
	v_or_b32_e32 v0, 0x7000, v218
	v_fma_f64 v[14:15], v[2:3], v[219:220], v[6:7]
	global_load_dwordx4 v[4:7], v0, s[6:7]
	ds_read_b128 v[219:222], v218 offset:28672
	s_waitcnt vmcnt(0) lgkmcnt(0)
	;; [unrolled: 8-line block ×4, first 2 shown]
	v_mul_f64 v[16:17], v[2:3], v[6:7]
	v_mul_f64 v[6:7], v[0:1], v[6:7]
	v_fma_f64 v[0:1], v[0:1], v[4:5], -v[16:17]
	v_fma_f64 v[2:3], v[2:3], v[4:5], v[6:7]
	ds_write_b128 v218, v[40:43]
	ds_write_b128 v218, v[36:39] offset:8192
	ds_write_b128 v218, v[32:35] offset:16384
	;; [unrolled: 1-line block ×11, first 2 shown]
	s_waitcnt lgkmcnt(0)
	s_barrier
	ds_read_b128 v[0:3], v218 offset:16384
	ds_read_b128 v[4:7], v218
	ds_read_b128 v[8:11], v218 offset:32768
	s_waitcnt lgkmcnt(1)
	v_add_f64 v[12:13], v[4:5], v[0:1]
	v_add_f64 v[14:15], v[6:7], v[2:3]
	s_waitcnt lgkmcnt(0)
	v_add_f64 v[16:17], v[0:1], v[8:9]
	v_add_f64 v[18:19], v[2:3], -v[10:11]
	v_add_f64 v[20:21], v[2:3], v[10:11]
	v_add_f64 v[22:23], v[0:1], -v[8:9]
	v_add_f64 v[24:25], v[12:13], v[8:9]
	v_add_f64 v[26:27], v[14:15], v[10:11]
	ds_read_b128 v[0:3], v218 offset:24576
	ds_read_b128 v[8:11], v218 offset:8192
	;; [unrolled: 1-line block ×3, first 2 shown]
	v_fma_f64 v[16:17], v[16:17], -0.5, v[4:5]
	v_fma_f64 v[20:21], v[20:21], -0.5, v[6:7]
	s_waitcnt lgkmcnt(1)
	v_add_f64 v[28:29], v[8:9], v[0:1]
	s_waitcnt lgkmcnt(0)
	v_add_f64 v[32:33], v[2:3], v[14:15]
	v_add_f64 v[30:31], v[10:11], v[2:3]
	;; [unrolled: 1-line block ×3, first 2 shown]
	v_add_f64 v[38:39], v[0:1], -v[12:13]
	v_add_f64 v[36:37], v[2:3], -v[14:15]
	v_add_f64 v[12:13], v[28:29], v[12:13]
	v_fma_f64 v[28:29], v[32:33], -0.5, v[10:11]
	v_add_f64 v[14:15], v[30:31], v[14:15]
	v_fma_f64 v[30:31], v[34:35], -0.5, v[8:9]
	v_add_f64 v[0:1], v[24:25], v[12:13]
	v_fma_f64 v[8:9], v[38:39], s[8:9], v[28:29]
	v_add_f64 v[4:5], v[24:25], -v[12:13]
	v_fma_f64 v[12:13], v[36:37], s[12:13], v[30:31]
	v_add_f64 v[2:3], v[26:27], v[14:15]
	v_add_f64 v[6:7], v[26:27], -v[14:15]
	v_fma_f64 v[26:27], v[22:23], s[8:9], v[20:21]
	v_fma_f64 v[22:23], v[22:23], s[12:13], v[20:21]
	v_mul_f64 v[10:11], v[8:9], s[12:13]
	v_mul_f64 v[8:9], v[8:9], 0.5
	v_fma_f64 v[14:15], v[12:13], 0.5, v[10:11]
	v_fma_f64 v[24:25], v[12:13], s[8:9], v[8:9]
	v_fma_f64 v[12:13], v[18:19], s[12:13], v[16:17]
	v_add_f64 v[10:11], v[26:27], v[24:25]
	v_add_f64 v[8:9], v[12:13], v[14:15]
	v_add_f64 v[12:13], v[12:13], -v[14:15]
	v_add_f64 v[14:15], v[26:27], -v[24:25]
	v_fma_f64 v[24:25], v[38:39], s[12:13], v[28:29]
	v_fma_f64 v[26:27], v[18:19], s[8:9], v[16:17]
	;; [unrolled: 1-line block ×3, first 2 shown]
	v_mul_f64 v[18:19], v[24:25], s[12:13]
	v_mul_f64 v[20:21], v[24:25], -0.5
	v_fma_f64 v[24:25], v[16:17], -0.5, v[18:19]
	v_fma_f64 v[28:29], v[16:17], s[8:9], v[20:21]
	v_add_f64 v[16:17], v[26:27], v[24:25]
	v_add_f64 v[18:19], v[22:23], v[28:29]
	v_add_f64 v[20:21], v[26:27], -v[24:25]
	v_add_f64 v[22:23], v[22:23], -v[28:29]
	ds_read_b128 v[24:27], v218 offset:4096
	ds_read_b128 v[28:31], v218 offset:20480
	;; [unrolled: 1-line block ×6, first 2 shown]
	s_waitcnt lgkmcnt(0)
	s_barrier
	ds_write_b128 v232, v[0:3]
	ds_write_b128 v232, v[8:11] offset:16
	ds_write_b128 v232, v[16:19] offset:32
	;; [unrolled: 1-line block ×5, first 2 shown]
	v_add_f64 v[0:1], v[24:25], v[28:29]
	v_add_f64 v[2:3], v[26:27], v[30:31]
	v_add_f64 v[12:13], v[42:43], v[221:222]
	v_add_f64 v[4:5], v[28:29], v[32:33]
	v_add_f64 v[18:19], v[28:29], -v[32:33]
	v_add_f64 v[14:15], v[40:41], v[219:220]
	v_add_f64 v[22:23], v[40:41], -v[219:220]
	v_add_f64 v[16:17], v[30:31], -v[34:35]
	v_add_f64 v[8:9], v[0:1], v[32:33]
	v_add_f64 v[0:1], v[36:37], v[40:41]
	;; [unrolled: 1-line block ×4, first 2 shown]
	v_fma_f64 v[32:33], v[12:13], -0.5, v[38:39]
	v_add_f64 v[6:7], v[30:31], v[34:35]
	v_add_f64 v[20:21], v[42:43], -v[221:222]
	v_fma_f64 v[24:25], v[4:5], -0.5, v[24:25]
	v_fma_f64 v[34:35], v[14:15], -0.5, v[36:37]
	v_add_f64 v[28:29], v[0:1], v[219:220]
	v_add_f64 v[30:31], v[2:3], v[221:222]
	v_fma_f64 v[26:27], v[6:7], -0.5, v[26:27]
	v_fma_f64 v[12:13], v[20:21], s[12:13], v[34:35]
	v_add_f64 v[0:1], v[8:9], v[28:29]
	v_add_f64 v[4:5], v[8:9], -v[28:29]
	v_fma_f64 v[8:9], v[22:23], s[8:9], v[32:33]
	v_add_f64 v[2:3], v[10:11], v[30:31]
	v_add_f64 v[6:7], v[10:11], -v[30:31]
	v_fma_f64 v[22:23], v[22:23], s[12:13], v[32:33]
	v_fma_f64 v[30:31], v[18:19], s[8:9], v[26:27]
	;; [unrolled: 1-line block ×3, first 2 shown]
	v_mul_f64 v[10:11], v[8:9], s[12:13]
	v_mul_f64 v[8:9], v[8:9], 0.5
	v_mul_f64 v[18:19], v[22:23], s[12:13]
	v_fma_f64 v[14:15], v[12:13], 0.5, v[10:11]
	v_fma_f64 v[28:29], v[12:13], s[8:9], v[8:9]
	v_fma_f64 v[12:13], v[16:17], s[12:13], v[24:25]
	;; [unrolled: 1-line block ×4, first 2 shown]
	v_mul_f64 v[20:21], v[22:23], -0.5
	v_add_f64 v[10:11], v[30:31], v[28:29]
	v_add_f64 v[8:9], v[12:13], v[14:15]
	v_add_f64 v[12:13], v[12:13], -v[14:15]
	v_add_f64 v[14:15], v[30:31], -v[28:29]
	v_fma_f64 v[22:23], v[16:17], -0.5, v[18:19]
	v_fma_f64 v[28:29], v[16:17], s[8:9], v[20:21]
	v_add_f64 v[16:17], v[24:25], v[22:23]
	v_add_f64 v[18:19], v[26:27], v[28:29]
	v_add_f64 v[20:21], v[24:25], -v[22:23]
	v_add_f64 v[22:23], v[26:27], -v[28:29]
	ds_write_b128 v231, v[0:3]
	ds_write_b128 v231, v[8:11] offset:16
	ds_write_b128 v231, v[16:19] offset:32
	;; [unrolled: 1-line block ×5, first 2 shown]
	s_waitcnt lgkmcnt(0)
	s_barrier
	ds_read_b128 v[4:7], v218 offset:24576
	ds_read_b128 v[0:3], v218 offset:12288
	s_waitcnt lgkmcnt(1)
	v_mul_f64 v[12:13], v[55:56], v[6:7]
	v_mul_f64 v[14:15], v[55:56], v[4:5]
	v_fma_f64 v[12:13], v[53:54], v[4:5], v[12:13]
	v_fma_f64 v[14:15], v[53:54], v[6:7], -v[14:15]
	ds_read_b128 v[4:7], v218 offset:16384
	s_waitcnt lgkmcnt(0)
	v_mul_f64 v[20:21], v[75:76], v[6:7]
	v_mul_f64 v[22:23], v[75:76], v[4:5]
	v_fma_f64 v[20:21], v[73:74], v[4:5], v[20:21]
	v_fma_f64 v[22:23], v[73:74], v[6:7], -v[22:23]
	ds_read_b128 v[4:7], v218 offset:40960
	v_mul_f64 v[8:9], v[59:60], v[2:3]
	v_mul_f64 v[10:11], v[59:60], v[0:1]
	s_waitcnt lgkmcnt(0)
	v_mul_f64 v[28:29], v[63:64], v[6:7]
	v_mul_f64 v[30:31], v[63:64], v[4:5]
	v_fma_f64 v[8:9], v[57:58], v[0:1], v[8:9]
	v_fma_f64 v[10:11], v[57:58], v[2:3], -v[10:11]
	ds_read_b128 v[0:3], v218 offset:36864
	v_fma_f64 v[28:29], v[61:62], v[4:5], v[28:29]
	v_fma_f64 v[30:31], v[61:62], v[6:7], -v[30:31]
	ds_read_b128 v[4:7], v218 offset:32768
	s_waitcnt lgkmcnt(1)
	v_mul_f64 v[16:17], v[51:52], v[2:3]
	v_mul_f64 v[18:19], v[51:52], v[0:1]
	s_waitcnt lgkmcnt(0)
	v_mul_f64 v[36:37], v[79:80], v[6:7]
	v_mul_f64 v[38:39], v[79:80], v[4:5]
	v_fma_f64 v[16:17], v[49:50], v[0:1], v[16:17]
	v_fma_f64 v[18:19], v[49:50], v[2:3], -v[18:19]
	ds_read_b128 v[0:3], v218 offset:28672
	v_fma_f64 v[36:37], v[77:78], v[4:5], v[36:37]
	v_fma_f64 v[38:39], v[77:78], v[6:7], -v[38:39]
	ds_read_b128 v[4:7], v218 offset:45056
	s_waitcnt lgkmcnt(1)
	v_mul_f64 v[24:25], v[67:68], v[2:3]
	v_mul_f64 v[26:27], v[67:68], v[0:1]
	v_add_f64 v[49:50], v[8:9], -v[16:17]
	v_add_f64 v[16:17], v[10:11], -v[18:19]
	v_fma_f64 v[24:25], v[65:66], v[0:1], v[24:25]
	v_fma_f64 v[26:27], v[65:66], v[2:3], -v[26:27]
	ds_read_b128 v[0:3], v218 offset:20480
	s_waitcnt lgkmcnt(0)
	v_mul_f64 v[32:33], v[83:84], v[2:3]
	v_mul_f64 v[34:35], v[83:84], v[0:1]
	v_fma_f64 v[32:33], v[81:82], v[0:1], v[32:33]
	v_fma_f64 v[34:35], v[81:82], v[2:3], -v[34:35]
	ds_read_b128 v[0:3], v218
	s_waitcnt lgkmcnt(0)
	v_add_f64 v[40:41], v[0:1], -v[12:13]
	v_add_f64 v[42:43], v[2:3], -v[14:15]
	v_fma_f64 v[12:13], v[0:1], 2.0, -v[40:41]
	v_fma_f64 v[14:15], v[2:3], 2.0, -v[42:43]
	;; [unrolled: 1-line block ×4, first 2 shown]
	v_mul_f64 v[8:9], v[71:72], v[6:7]
	v_mul_f64 v[10:11], v[71:72], v[4:5]
	v_add_f64 v[18:19], v[42:43], -v[49:50]
	v_add_f64 v[16:17], v[40:41], v[16:17]
	v_add_f64 v[0:1], v[12:13], -v[0:1]
	v_add_f64 v[2:3], v[14:15], -v[2:3]
	v_fma_f64 v[51:52], v[69:70], v[4:5], v[8:9]
	v_fma_f64 v[53:54], v[69:70], v[6:7], -v[10:11]
	ds_read_b128 v[4:7], v218 offset:8192
	ds_read_b128 v[8:11], v218 offset:4096
	s_waitcnt lgkmcnt(0)
	s_barrier
	v_add_f64 v[57:58], v[4:5], -v[36:37]
	v_add_f64 v[49:50], v[8:9], -v[24:25]
	;; [unrolled: 1-line block ×8, first 2 shown]
	v_fma_f64 v[51:52], v[4:5], 2.0, -v[57:58]
	v_fma_f64 v[36:37], v[8:9], 2.0, -v[49:50]
	;; [unrolled: 1-line block ×8, first 2 shown]
	v_add_f64 v[20:21], v[49:50], v[26:27]
	v_add_f64 v[22:23], v[55:56], -v[24:25]
	v_fma_f64 v[12:13], v[12:13], 2.0, -v[0:1]
	v_add_f64 v[8:9], v[36:37], -v[8:9]
	v_add_f64 v[10:11], v[38:39], -v[10:11]
	v_fma_f64 v[14:15], v[14:15], 2.0, -v[2:3]
	v_fma_f64 v[4:5], v[40:41], 2.0, -v[16:17]
	;; [unrolled: 1-line block ×3, first 2 shown]
	v_add_f64 v[24:25], v[51:52], -v[32:33]
	v_add_f64 v[26:27], v[53:54], -v[34:35]
	v_add_f64 v[28:29], v[57:58], v[28:29]
	v_fma_f64 v[32:33], v[36:37], 2.0, -v[8:9]
	v_fma_f64 v[34:35], v[38:39], 2.0, -v[10:11]
	;; [unrolled: 1-line block ×4, first 2 shown]
	ds_write_b128 v217, v[12:15]
	ds_write_b128 v217, v[4:7] offset:96
	ds_write_b128 v217, v[0:3] offset:192
	;; [unrolled: 1-line block ×3, first 2 shown]
	ds_write_b128 v255, v[32:35]
	ds_write_b128 v255, v[36:39] offset:96
	ds_write_b128 v255, v[8:11] offset:192
	;; [unrolled: 1-line block ×3, first 2 shown]
	buffer_load_dword v0, off, s[20:23], 0 offset:144 ; 4-byte Folded Reload
	v_add_f64 v[30:31], v[59:60], -v[30:31]
	v_fma_f64 v[40:41], v[51:52], 2.0, -v[24:25]
	v_fma_f64 v[42:43], v[53:54], 2.0, -v[26:27]
	v_fma_f64 v[49:50], v[57:58], 2.0, -v[28:29]
	v_fma_f64 v[51:52], v[59:60], 2.0, -v[30:31]
	s_waitcnt vmcnt(0)
	ds_write_b128 v0, v[40:43]
	ds_write_b128 v0, v[49:52] offset:96
	ds_write_b128 v0, v[24:27] offset:192
	;; [unrolled: 1-line block ×3, first 2 shown]
	s_waitcnt lgkmcnt(0)
	s_barrier
	ds_read_b128 v[0:3], v218 offset:12288
	buffer_load_dword v71, off, s[20:23], 0 offset:128 ; 4-byte Folded Reload
	buffer_load_dword v72, off, s[20:23], 0 offset:132 ; 4-byte Folded Reload
	ds_read_b128 v[4:7], v218
	ds_read_b128 v[8:11], v218 offset:4096
	ds_read_b128 v[12:15], v218 offset:8192
	ds_read_b128 v[16:19], v218 offset:24576
	ds_read_b128 v[20:23], v218 offset:28672
	ds_read_b128 v[24:27], v218 offset:16384
	ds_read_b128 v[28:31], v218 offset:20480
	ds_read_b128 v[32:35], v218 offset:36864
	ds_read_b128 v[36:39], v218 offset:32768
	s_waitcnt lgkmcnt(5)
	v_mul_f64 v[51:52], v[91:92], v[18:19]
	v_mul_f64 v[40:41], v[95:96], v[2:3]
	;; [unrolled: 1-line block ×3, first 2 shown]
	s_waitcnt lgkmcnt(1)
	v_mul_f64 v[55:56], v[87:88], v[34:35]
	v_mul_f64 v[53:54], v[91:92], v[16:17]
	;; [unrolled: 1-line block ×5, first 2 shown]
	v_fma_f64 v[51:52], v[89:90], v[16:17], v[51:52]
	v_fma_f64 v[40:41], v[93:94], v[0:1], v[40:41]
	v_fma_f64 v[42:43], v[93:94], v[2:3], -v[42:43]
	v_fma_f64 v[32:33], v[85:86], v[32:33], v[55:56]
	v_fma_f64 v[53:54], v[89:90], v[18:19], -v[53:54]
	ds_read_b128 v[0:3], v218 offset:40960
	ds_read_b128 v[16:19], v218 offset:45056
	v_fma_f64 v[34:35], v[85:86], v[34:35], -v[57:58]
	v_fma_f64 v[24:25], v[105:106], v[24:25], v[59:60]
	v_mul_f64 v[55:56], v[103:104], v[22:23]
	s_waitcnt lgkmcnt(1)
	v_mul_f64 v[59:60], v[99:100], v[2:3]
	v_fma_f64 v[26:27], v[105:106], v[26:27], -v[61:62]
	v_add_f64 v[32:33], v[40:41], -v[32:33]
	v_mul_f64 v[57:58], v[103:104], v[20:21]
	v_mul_f64 v[61:62], v[99:100], v[0:1]
	v_add_f64 v[34:35], v[42:43], -v[34:35]
	s_waitcnt lgkmcnt(0)
	v_mul_f64 v[63:64], v[111:112], v[18:19]
	v_fma_f64 v[20:21], v[101:102], v[20:21], v[55:56]
	v_fma_f64 v[55:56], v[97:98], v[0:1], v[59:60]
	v_mul_f64 v[59:60], v[115:116], v[38:39]
	v_fma_f64 v[0:1], v[40:41], 2.0, -v[32:33]
	v_mul_f64 v[40:41], v[119:120], v[30:31]
	v_add_f64 v[53:54], v[6:7], -v[53:54]
	v_fma_f64 v[22:23], v[101:102], v[22:23], -v[57:58]
	v_fma_f64 v[57:58], v[97:98], v[2:3], -v[61:62]
	v_fma_f64 v[2:3], v[42:43], 2.0, -v[34:35]
	v_mul_f64 v[42:43], v[119:120], v[28:29]
	v_mul_f64 v[61:62], v[115:116], v[36:37]
	;; [unrolled: 1-line block ×3, first 2 shown]
	v_fma_f64 v[28:29], v[117:118], v[28:29], v[40:41]
	v_fma_f64 v[36:37], v[113:114], v[36:37], v[59:60]
	;; [unrolled: 1-line block ×3, first 2 shown]
	v_add_f64 v[51:52], v[4:5], -v[51:52]
	v_add_f64 v[59:60], v[8:9], -v[20:21]
	v_fma_f64 v[30:31], v[117:118], v[30:31], -v[42:43]
	v_fma_f64 v[38:39], v[113:114], v[38:39], -v[61:62]
	;; [unrolled: 1-line block ×3, first 2 shown]
	v_add_f64 v[18:19], v[53:54], -v[32:33]
	v_add_f64 v[61:62], v[10:11], -v[22:23]
	;; [unrolled: 1-line block ×5, first 2 shown]
	v_add_f64 v[16:17], v[51:52], v[34:35]
	v_fma_f64 v[36:37], v[8:9], 2.0, -v[59:60]
	v_add_f64 v[34:35], v[30:31], -v[42:43]
	v_fma_f64 v[4:5], v[4:5], 2.0, -v[51:52]
	v_fma_f64 v[24:25], v[24:25], 2.0, -v[22:23]
	;; [unrolled: 1-line block ×5, first 2 shown]
	s_waitcnt vmcnt(0)
	s_barrier
	v_add_f64 v[20:21], v[26:27], -v[57:58]
	v_add_f64 v[57:58], v[14:15], -v[38:39]
	;; [unrolled: 1-line block ×3, first 2 shown]
	v_fma_f64 v[6:7], v[6:7], 2.0, -v[53:54]
	v_add_f64 v[24:25], v[40:41], -v[28:29]
	v_add_f64 v[28:29], v[55:56], v[34:35]
	v_fma_f64 v[38:39], v[10:11], 2.0, -v[61:62]
	v_fma_f64 v[30:31], v[30:31], 2.0, -v[34:35]
	;; [unrolled: 1-line block ×4, first 2 shown]
	v_add_f64 v[0:1], v[4:5], -v[0:1]
	v_add_f64 v[2:3], v[6:7], -v[2:3]
	v_add_f64 v[20:21], v[59:60], v[20:21]
	v_fma_f64 v[51:52], v[55:56], 2.0, -v[28:29]
	buffer_load_dword v55, off, s[20:23], 0 offset:148 ; 4-byte Folded Reload
	v_add_f64 v[22:23], v[61:62], -v[22:23]
	v_add_f64 v[14:15], v[38:39], -v[26:27]
	;; [unrolled: 1-line block ×4, first 2 shown]
	v_fma_f64 v[4:5], v[4:5], 2.0, -v[0:1]
	v_fma_f64 v[6:7], v[6:7], 2.0, -v[2:3]
	;; [unrolled: 1-line block ×10, first 2 shown]
	s_waitcnt vmcnt(0)
	ds_write_b128 v55, v[4:7]
	ds_write_b128 v55, v[8:11] offset:384
	ds_write_b128 v55, v[0:3] offset:768
	ds_write_b128 v55, v[16:19] offset:1152
	ds_write_b128 v237, v[32:35]
	ds_write_b128 v237, v[36:39] offset:384
	ds_write_b128 v237, v[12:15] offset:768
	ds_write_b128 v237, v[20:23] offset:1152
	;; [unrolled: 4-line block ×3, first 2 shown]
	s_waitcnt lgkmcnt(0)
	s_barrier
	ds_read_b128 v[0:3], v218
	ds_read_b128 v[4:7], v218 offset:4096
	ds_read_b128 v[8:11], v218 offset:24576
	;; [unrolled: 1-line block ×11, first 2 shown]
	s_waitcnt lgkmcnt(7)
	v_mul_f64 v[55:56], v[131:132], v[18:19]
	v_mul_f64 v[57:58], v[131:132], v[16:17]
	v_mul_f64 v[59:60], v[127:128], v[10:11]
	v_mul_f64 v[61:62], v[127:128], v[8:9]
	s_waitcnt lgkmcnt(3)
	v_mul_f64 v[63:64], v[123:124], v[34:35]
	v_mul_f64 v[65:66], v[123:124], v[32:33]
	;; [unrolled: 1-line block ×4, first 2 shown]
	v_fma_f64 v[16:17], v[129:130], v[16:17], v[55:56]
	v_fma_f64 v[18:19], v[129:130], v[18:19], -v[57:58]
	v_fma_f64 v[8:9], v[125:126], v[8:9], v[59:60]
	v_fma_f64 v[10:11], v[125:126], v[10:11], -v[61:62]
	;; [unrolled: 2-line block ×3, first 2 shown]
	v_mul_f64 v[55:56], v[139:140], v[14:15]
	v_mul_f64 v[57:58], v[139:140], v[12:13]
	s_waitcnt lgkmcnt(1)
	v_mul_f64 v[59:60], v[135:136], v[42:43]
	v_mul_f64 v[61:62], v[135:136], v[40:41]
	v_add_f64 v[63:64], v[0:1], -v[8:9]
	v_add_f64 v[65:66], v[2:3], -v[10:11]
	;; [unrolled: 1-line block ×4, first 2 shown]
	v_fma_f64 v[55:56], v[137:138], v[12:13], v[55:56]
	v_fma_f64 v[57:58], v[137:138], v[14:15], -v[57:58]
	v_fma_f64 v[40:41], v[133:134], v[40:41], v[59:60]
	v_fma_f64 v[42:43], v[133:134], v[42:43], -v[61:62]
	v_fma_f64 v[8:9], v[0:1], 2.0, -v[63:64]
	v_fma_f64 v[10:11], v[2:3], 2.0, -v[65:66]
	v_fma_f64 v[0:1], v[16:17], 2.0, -v[32:33]
	v_fma_f64 v[2:3], v[18:19], 2.0, -v[34:35]
	v_mul_f64 v[12:13], v[155:156], v[30:31]
	v_mul_f64 v[14:15], v[155:156], v[28:29]
	;; [unrolled: 1-line block ×4, first 2 shown]
	s_waitcnt lgkmcnt(0)
	v_mul_f64 v[59:60], v[147:148], v[53:54]
	v_mul_f64 v[61:62], v[147:148], v[51:52]
	v_fma_f64 v[24:25], v[141:142], v[24:25], v[67:68]
	v_fma_f64 v[26:27], v[141:142], v[26:27], -v[69:70]
	v_fma_f64 v[28:29], v[153:154], v[28:29], v[12:13]
	v_fma_f64 v[30:31], v[153:154], v[30:31], -v[14:15]
	;; [unrolled: 2-line block ×4, first 2 shown]
	v_add_f64 v[12:13], v[63:64], v[34:35]
	v_add_f64 v[14:15], v[65:66], -v[32:33]
	v_add_f64 v[51:52], v[4:5], -v[55:56]
	;; [unrolled: 1-line block ×9, first 2 shown]
	v_fma_f64 v[40:41], v[4:5], 2.0, -v[51:52]
	v_fma_f64 v[42:43], v[6:7], 2.0, -v[53:54]
	;; [unrolled: 1-line block ×8, first 2 shown]
	v_add_f64 v[0:1], v[8:9], -v[0:1]
	v_add_f64 v[2:3], v[10:11], -v[2:3]
	;; [unrolled: 1-line block ×4, first 2 shown]
	v_add_f64 v[20:21], v[51:52], v[34:35]
	v_add_f64 v[22:23], v[53:54], -v[32:33]
	v_add_f64 v[24:25], v[59:60], -v[24:25]
	;; [unrolled: 1-line block ×3, first 2 shown]
	v_add_f64 v[28:29], v[55:56], v[38:39]
	v_add_f64 v[30:31], v[57:58], -v[36:37]
	v_fma_f64 v[8:9], v[8:9], 2.0, -v[0:1]
	v_fma_f64 v[10:11], v[10:11], 2.0, -v[2:3]
	v_fma_f64 v[4:5], v[63:64], 2.0, -v[12:13]
	v_fma_f64 v[6:7], v[65:66], 2.0, -v[14:15]
	v_fma_f64 v[32:33], v[40:41], 2.0, -v[16:17]
	v_fma_f64 v[34:35], v[42:43], 2.0, -v[18:19]
	v_fma_f64 v[36:37], v[51:52], 2.0, -v[20:21]
	v_fma_f64 v[38:39], v[53:54], 2.0, -v[22:23]
	v_fma_f64 v[40:41], v[59:60], 2.0, -v[24:25]
	v_fma_f64 v[42:43], v[61:62], 2.0, -v[26:27]
	v_fma_f64 v[51:52], v[55:56], 2.0, -v[28:29]
	v_fma_f64 v[53:54], v[57:58], 2.0, -v[30:31]
	s_barrier
	ds_write_b128 v239, v[8:11]
	ds_write_b128 v239, v[4:7] offset:1536
	ds_write_b128 v239, v[0:3] offset:3072
	ds_write_b128 v239, v[12:15] offset:4608
	ds_write_b128 v240, v[32:35]
	ds_write_b128 v240, v[36:39] offset:1536
	ds_write_b128 v240, v[16:19] offset:3072
	ds_write_b128 v240, v[20:23] offset:4608
	;; [unrolled: 4-line block ×3, first 2 shown]
	s_waitcnt lgkmcnt(0)
	s_barrier
	ds_read_b128 v[0:3], v218
	ds_read_b128 v[4:7], v218 offset:4096
	ds_read_b128 v[8:11], v218 offset:24576
	;; [unrolled: 1-line block ×11, first 2 shown]
	s_waitcnt lgkmcnt(7)
	v_mul_f64 v[55:56], v[159:160], v[18:19]
	v_mul_f64 v[57:58], v[159:160], v[16:17]
	;; [unrolled: 1-line block ×4, first 2 shown]
	s_waitcnt lgkmcnt(3)
	v_mul_f64 v[63:64], v[163:164], v[34:35]
	v_mul_f64 v[65:66], v[163:164], v[32:33]
	;; [unrolled: 1-line block ×4, first 2 shown]
	v_fma_f64 v[16:17], v[157:158], v[16:17], v[55:56]
	v_fma_f64 v[18:19], v[157:158], v[18:19], -v[57:58]
	v_fma_f64 v[8:9], v[165:166], v[8:9], v[59:60]
	v_fma_f64 v[10:11], v[165:166], v[10:11], -v[61:62]
	;; [unrolled: 2-line block ×3, first 2 shown]
	v_mul_f64 v[55:56], v[175:176], v[14:15]
	v_mul_f64 v[57:58], v[175:176], v[12:13]
	s_waitcnt lgkmcnt(1)
	v_mul_f64 v[59:60], v[171:172], v[42:43]
	v_mul_f64 v[61:62], v[171:172], v[40:41]
	v_add_f64 v[63:64], v[0:1], -v[8:9]
	v_add_f64 v[65:66], v[2:3], -v[10:11]
	;; [unrolled: 1-line block ×4, first 2 shown]
	v_fma_f64 v[55:56], v[173:174], v[12:13], v[55:56]
	v_fma_f64 v[57:58], v[173:174], v[14:15], -v[57:58]
	v_fma_f64 v[40:41], v[169:170], v[40:41], v[59:60]
	v_fma_f64 v[42:43], v[169:170], v[42:43], -v[61:62]
	v_fma_f64 v[8:9], v[0:1], 2.0, -v[63:64]
	v_fma_f64 v[10:11], v[2:3], 2.0, -v[65:66]
	;; [unrolled: 1-line block ×4, first 2 shown]
	v_mul_f64 v[12:13], v[183:184], v[30:31]
	v_mul_f64 v[14:15], v[183:184], v[28:29]
	;; [unrolled: 1-line block ×4, first 2 shown]
	s_waitcnt lgkmcnt(0)
	v_mul_f64 v[59:60], v[191:192], v[53:54]
	v_mul_f64 v[61:62], v[191:192], v[51:52]
	v_fma_f64 v[24:25], v[177:178], v[24:25], v[67:68]
	v_fma_f64 v[26:27], v[177:178], v[26:27], -v[69:70]
	v_fma_f64 v[28:29], v[181:182], v[28:29], v[12:13]
	v_fma_f64 v[30:31], v[181:182], v[30:31], -v[14:15]
	;; [unrolled: 2-line block ×4, first 2 shown]
	v_add_f64 v[12:13], v[63:64], v[34:35]
	v_add_f64 v[14:15], v[65:66], -v[32:33]
	v_add_f64 v[51:52], v[4:5], -v[55:56]
	;; [unrolled: 1-line block ×9, first 2 shown]
	v_fma_f64 v[40:41], v[4:5], 2.0, -v[51:52]
	v_fma_f64 v[42:43], v[6:7], 2.0, -v[53:54]
	;; [unrolled: 1-line block ×8, first 2 shown]
	v_add_f64 v[0:1], v[8:9], -v[0:1]
	v_add_f64 v[2:3], v[10:11], -v[2:3]
	;; [unrolled: 1-line block ×4, first 2 shown]
	v_add_f64 v[20:21], v[51:52], v[34:35]
	v_add_f64 v[22:23], v[53:54], -v[32:33]
	v_add_f64 v[24:25], v[59:60], -v[24:25]
	;; [unrolled: 1-line block ×3, first 2 shown]
	v_add_f64 v[28:29], v[55:56], v[38:39]
	v_add_f64 v[30:31], v[57:58], -v[36:37]
	v_fma_f64 v[8:9], v[8:9], 2.0, -v[0:1]
	v_fma_f64 v[10:11], v[10:11], 2.0, -v[2:3]
	;; [unrolled: 1-line block ×12, first 2 shown]
	s_barrier
	ds_write_b128 v218, v[8:11]
	ds_write_b128 v218, v[4:7] offset:6144
	ds_write_b128 v218, v[0:3] offset:12288
	;; [unrolled: 1-line block ×3, first 2 shown]
	ds_write_b128 v242, v[32:35]
	ds_write_b128 v242, v[36:39] offset:6144
	ds_write_b128 v242, v[16:19] offset:12288
	;; [unrolled: 1-line block ×7, first 2 shown]
	s_waitcnt lgkmcnt(0)
	s_barrier
	ds_read_b128 v[0:3], v218
	ds_read_b128 v[4:7], v218 offset:4096
	ds_read_b128 v[8:11], v218 offset:24576
	;; [unrolled: 1-line block ×11, first 2 shown]
	s_waitcnt lgkmcnt(9)
	v_mul_f64 v[55:56], v[195:196], v[10:11]
	v_mul_f64 v[57:58], v[195:196], v[8:9]
	s_waitcnt lgkmcnt(8)
	v_mul_f64 v[59:60], v[199:200], v[14:15]
	v_mul_f64 v[61:62], v[199:200], v[12:13]
	;; [unrolled: 3-line block ×4, first 2 shown]
	v_fma_f64 v[8:9], v[193:194], v[8:9], v[55:56]
	v_fma_f64 v[10:11], v[193:194], v[10:11], -v[57:58]
	v_fma_f64 v[12:13], v[197:198], v[12:13], v[59:60]
	v_fma_f64 v[14:15], v[197:198], v[14:15], -v[61:62]
	s_waitcnt lgkmcnt(1)
	v_mul_f64 v[55:56], v[211:212], v[42:43]
	v_mul_f64 v[57:58], v[211:212], v[40:41]
	s_waitcnt lgkmcnt(0)
	v_mul_f64 v[59:60], v[215:216], v[53:54]
	v_mul_f64 v[61:62], v[215:216], v[51:52]
	v_fma_f64 v[24:25], v[201:202], v[24:25], v[63:64]
	v_fma_f64 v[26:27], v[201:202], v[26:27], -v[65:66]
	v_fma_f64 v[28:29], v[205:206], v[28:29], v[67:68]
	v_fma_f64 v[30:31], v[205:206], v[30:31], -v[69:70]
	v_add_f64 v[8:9], v[0:1], -v[8:9]
	v_add_f64 v[10:11], v[2:3], -v[10:11]
	v_fma_f64 v[40:41], v[209:210], v[40:41], v[55:56]
	v_fma_f64 v[42:43], v[209:210], v[42:43], -v[57:58]
	v_fma_f64 v[51:52], v[213:214], v[51:52], v[59:60]
	v_fma_f64 v[53:54], v[213:214], v[53:54], -v[61:62]
	v_add_f64 v[12:13], v[4:5], -v[12:13]
	v_add_f64 v[14:15], v[6:7], -v[14:15]
	;; [unrolled: 1-line block ×6, first 2 shown]
	v_fma_f64 v[0:1], v[0:1], 2.0, -v[8:9]
	v_fma_f64 v[2:3], v[2:3], 2.0, -v[10:11]
	v_add_f64 v[40:41], v[32:33], -v[40:41]
	v_add_f64 v[42:43], v[34:35], -v[42:43]
	;; [unrolled: 1-line block ×4, first 2 shown]
	v_fma_f64 v[4:5], v[4:5], 2.0, -v[12:13]
	v_fma_f64 v[6:7], v[6:7], 2.0, -v[14:15]
	;; [unrolled: 1-line block ×10, first 2 shown]
	ds_write_b128 v218, v[0:3]
	ds_write_b128 v218, v[8:11] offset:24576
	ds_write_b128 v218, v[4:7] offset:4096
	;; [unrolled: 1-line block ×11, first 2 shown]
	s_waitcnt lgkmcnt(0)
	s_barrier
	ds_read_b128 v[0:3], v218
	buffer_load_dword v13, off, s[20:23], 0 offset:112 ; 4-byte Folded Reload
	buffer_load_dword v14, off, s[20:23], 0 offset:116 ; 4-byte Folded Reload
	;; [unrolled: 1-line block ×4, first 2 shown]
	v_mad_u64_u32 v[49:50], s[6:7], s2, v71, 0
	v_mov_b32_e32 v24, s5
	v_mov_b32_e32 v4, v50
	v_mad_u64_u32 v[10:11], s[2:3], s3, v71, v[4:5]
	ds_read_b128 v[4:7], v218 offset:4096
	v_mov_b32_e32 v50, v10
	v_lshlrev_b64 v[18:19], 4, v[49:50]
	v_add_co_u32_e32 v18, vcc, s4, v18
	v_addc_co_u32_e32 v19, vcc, v24, v19, vcc
	s_lshl_b64 s[4:5], s[0:1], 13
	v_mov_b32_e32 v42, s5
	s_waitcnt vmcnt(0) lgkmcnt(1)
	v_mul_f64 v[8:9], v[15:16], v[2:3]
	v_mul_f64 v[11:12], v[15:16], v[0:1]
	v_mad_u64_u32 v[16:17], s[2:3], s0, v44, 0
	s_mov_b32 s2, 0x55555555
	s_mov_b32 s3, 0x3f355555
	v_fma_f64 v[0:1], v[13:14], v[0:1], v[8:9]
	v_mov_b32_e32 v8, v17
	v_fma_f64 v[2:3], v[13:14], v[2:3], -v[11:12]
	v_mad_u64_u32 v[12:13], s[6:7], s1, v44, v[8:9]
	ds_read_b128 v[8:11], v218 offset:8192
	s_mul_i32 s1, s1, 0xffff7000
	v_mov_b32_e32 v17, v12
	ds_read_b128 v[12:15], v218 offset:12288
	buffer_load_dword v25, off, s[20:23], 0 offset:96 ; 4-byte Folded Reload
	buffer_load_dword v26, off, s[20:23], 0 offset:100 ; 4-byte Folded Reload
	;; [unrolled: 1-line block ×4, first 2 shown]
	v_lshlrev_b64 v[16:17], 4, v[16:17]
	v_mul_f64 v[0:1], v[0:1], s[2:3]
	v_add_co_u32_e32 v24, vcc, v18, v16
	v_mul_f64 v[2:3], v[2:3], s[2:3]
	s_waitcnt vmcnt(0) lgkmcnt(1)
	v_mul_f64 v[20:21], v[27:28], v[10:11]
	v_mul_f64 v[22:23], v[27:28], v[8:9]
	v_fma_f64 v[20:21], v[25:26], v[8:9], v[20:21]
	v_fma_f64 v[22:23], v[25:26], v[10:11], -v[22:23]
	ds_read_b128 v[8:11], v218 offset:16384
	v_addc_co_u32_e32 v25, vcc, v19, v17, vcc
	ds_read_b128 v[16:19], v218 offset:20480
	buffer_load_dword v30, off, s[20:23], 0 offset:80 ; 4-byte Folded Reload
	buffer_load_dword v31, off, s[20:23], 0 offset:84 ; 4-byte Folded Reload
	;; [unrolled: 1-line block ×4, first 2 shown]
	v_add_co_u32_e32 v34, vcc, s4, v24
	global_store_dwordx4 v[24:25], v[0:3], off
	v_addc_co_u32_e32 v35, vcc, v25, v42, vcc
	v_mul_f64 v[0:1], v[20:21], s[2:3]
	v_mul_f64 v[2:3], v[22:23], s[2:3]
	ds_read_b128 v[20:23], v218 offset:24576
	s_waitcnt vmcnt(1) lgkmcnt(2)
	v_mul_f64 v[26:27], v[32:33], v[10:11]
	v_mul_f64 v[28:29], v[32:33], v[8:9]
	v_fma_f64 v[26:27], v[30:31], v[8:9], v[26:27]
	v_fma_f64 v[28:29], v[30:31], v[10:11], -v[28:29]
	ds_read_b128 v[8:11], v218 offset:28672
	buffer_load_dword v36, off, s[20:23], 0 offset:64 ; 4-byte Folded Reload
	buffer_load_dword v37, off, s[20:23], 0 offset:68 ; 4-byte Folded Reload
	;; [unrolled: 1-line block ×4, first 2 shown]
	s_waitcnt vmcnt(0) lgkmcnt(1)
	v_mul_f64 v[30:31], v[38:39], v[22:23]
	v_mul_f64 v[32:33], v[38:39], v[20:21]
	global_store_dwordx4 v[34:35], v[0:3], off
	v_add_co_u32_e32 v34, vcc, s4, v34
	v_mul_f64 v[0:1], v[26:27], s[2:3]
	ds_read_b128 v[24:27], v218 offset:32768
	v_mul_f64 v[2:3], v[28:29], s[2:3]
	v_fma_f64 v[28:29], v[36:37], v[20:21], v[30:31]
	v_fma_f64 v[32:33], v[36:37], v[22:23], -v[32:33]
	ds_read_b128 v[20:23], v218 offset:36864
	buffer_load_dword v49, off, s[20:23], 0 offset:48 ; 4-byte Folded Reload
	buffer_load_dword v50, off, s[20:23], 0 offset:52 ; 4-byte Folded Reload
	buffer_load_dword v51, off, s[20:23], 0 offset:56 ; 4-byte Folded Reload
	buffer_load_dword v52, off, s[20:23], 0 offset:60 ; 4-byte Folded Reload
	v_addc_co_u32_e32 v35, vcc, v35, v42, vcc
	global_store_dwordx4 v[34:35], v[0:3], off
	s_nop 0
	v_mul_f64 v[0:1], v[28:29], s[2:3]
	ds_read_b128 v[28:31], v218 offset:40960
	v_mul_f64 v[2:3], v[32:33], s[2:3]
	v_add_co_u32_e32 v34, vcc, s4, v34
	v_addc_co_u32_e32 v35, vcc, v35, v42, vcc
	s_waitcnt vmcnt(1) lgkmcnt(2)
	v_mul_f64 v[36:37], v[51:52], v[26:27]
	v_mul_f64 v[38:39], v[51:52], v[24:25]
	v_fma_f64 v[32:33], v[49:50], v[24:25], v[36:37]
	v_fma_f64 v[36:37], v[49:50], v[26:27], -v[38:39]
	ds_read_b128 v[24:27], v218 offset:45056
	buffer_load_dword v49, off, s[20:23], 0 offset:32 ; 4-byte Folded Reload
	buffer_load_dword v50, off, s[20:23], 0 offset:36 ; 4-byte Folded Reload
	;; [unrolled: 1-line block ×4, first 2 shown]
	s_waitcnt vmcnt(0) lgkmcnt(1)
	v_mul_f64 v[38:39], v[51:52], v[30:31]
	v_mul_f64 v[40:41], v[51:52], v[28:29]
	global_store_dwordx4 v[34:35], v[0:3], off
	v_add_co_u32_e32 v34, vcc, s4, v34
	v_mul_f64 v[0:1], v[32:33], s[2:3]
	v_mul_f64 v[2:3], v[36:37], s[2:3]
	v_addc_co_u32_e32 v35, vcc, v35, v42, vcc
	v_fma_f64 v[28:29], v[49:50], v[28:29], v[38:39]
	v_fma_f64 v[30:31], v[49:50], v[30:31], -v[40:41]
	buffer_load_dword v38, off, s[20:23], 0 offset:16 ; 4-byte Folded Reload
	buffer_load_dword v39, off, s[20:23], 0 offset:20 ; 4-byte Folded Reload
	;; [unrolled: 1-line block ×4, first 2 shown]
	s_waitcnt vmcnt(0)
	v_mul_f64 v[32:33], v[40:41], v[6:7]
	v_mul_f64 v[36:37], v[40:41], v[4:5]
	global_store_dwordx4 v[34:35], v[0:3], off
	v_fma_f64 v[4:5], v[38:39], v[4:5], v[32:33]
	v_fma_f64 v[6:7], v[38:39], v[6:7], -v[36:37]
	buffer_load_dword v36, off, s[20:23], 0 ; 4-byte Folded Reload
	buffer_load_dword v37, off, s[20:23], 0 offset:4 ; 4-byte Folded Reload
	buffer_load_dword v38, off, s[20:23], 0 offset:8 ; 4-byte Folded Reload
	;; [unrolled: 1-line block ×3, first 2 shown]
	v_mul_f64 v[0:1], v[28:29], s[2:3]
	v_mul_f64 v[2:3], v[30:31], s[2:3]
	v_add_co_u32_e32 v32, vcc, s4, v34
	v_addc_co_u32_e32 v33, vcc, v35, v42, vcc
	global_store_dwordx4 v[32:33], v[0:3], off
	s_nop 0
	v_mul_f64 v[0:1], v[4:5], s[2:3]
	v_mul_f64 v[2:3], v[6:7], s[2:3]
	v_mov_b32_e32 v4, 0xffff7000
	v_mad_u64_u32 v[4:5], s[6:7], s0, v4, v[32:33]
	s_sub_i32 s0, s1, s0
	v_add_u32_e32 v5, s0, v5
	global_store_dwordx4 v[4:5], v[0:3], off
	v_add_co_u32_e32 v4, vcc, s4, v4
	v_addc_co_u32_e32 v5, vcc, v5, v42, vcc
	s_waitcnt vmcnt(2)
	v_mul_f64 v[28:29], v[38:39], v[14:15]
	v_mul_f64 v[30:31], v[38:39], v[12:13]
	v_fma_f64 v[6:7], v[36:37], v[12:13], v[28:29]
	v_fma_f64 v[12:13], v[36:37], v[14:15], -v[30:31]
	v_mul_f64 v[14:15], v[235:236], v[18:19]
	v_mul_f64 v[28:29], v[235:236], v[16:17]
	v_mul_f64 v[0:1], v[6:7], s[2:3]
	v_mul_f64 v[2:3], v[12:13], s[2:3]
	v_fma_f64 v[6:7], v[233:234], v[16:17], v[14:15]
	v_fma_f64 v[12:13], v[233:234], v[18:19], -v[28:29]
	v_mul_f64 v[14:15], v[229:230], v[10:11]
	v_mul_f64 v[16:17], v[229:230], v[8:9]
	global_store_dwordx4 v[4:5], v[0:3], off
	s_nop 0
	v_mul_f64 v[0:1], v[6:7], s[2:3]
	v_mul_f64 v[2:3], v[12:13], s[2:3]
	v_fma_f64 v[6:7], v[227:228], v[8:9], v[14:15]
	v_fma_f64 v[8:9], v[227:228], v[10:11], -v[16:17]
	v_mul_f64 v[10:11], v[225:226], v[22:23]
	v_mul_f64 v[12:13], v[225:226], v[20:21]
	s_waitcnt lgkmcnt(0)
	v_mul_f64 v[14:15], v[47:48], v[26:27]
	v_mul_f64 v[16:17], v[47:48], v[24:25]
	v_add_co_u32_e32 v4, vcc, s4, v4
	v_addc_co_u32_e32 v5, vcc, v5, v42, vcc
	global_store_dwordx4 v[4:5], v[0:3], off
	s_nop 0
	v_mul_f64 v[0:1], v[6:7], s[2:3]
	v_mul_f64 v[2:3], v[8:9], s[2:3]
	v_fma_f64 v[6:7], v[223:224], v[20:21], v[10:11]
	v_fma_f64 v[8:9], v[223:224], v[22:23], -v[12:13]
	v_fma_f64 v[10:11], v[45:46], v[24:25], v[14:15]
	v_fma_f64 v[12:13], v[45:46], v[26:27], -v[16:17]
	v_add_co_u32_e32 v14, vcc, s4, v4
	v_addc_co_u32_e32 v15, vcc, v5, v42, vcc
	v_mul_f64 v[4:5], v[6:7], s[2:3]
	v_mul_f64 v[6:7], v[8:9], s[2:3]
	global_store_dwordx4 v[14:15], v[0:3], off
	v_add_co_u32_e32 v8, vcc, s4, v14
	v_mul_f64 v[0:1], v[10:11], s[2:3]
	v_mul_f64 v[2:3], v[12:13], s[2:3]
	v_addc_co_u32_e32 v9, vcc, v15, v42, vcc
	global_store_dwordx4 v[8:9], v[4:7], off
	s_nop 0
	v_add_co_u32_e32 v4, vcc, s4, v8
	v_addc_co_u32_e32 v5, vcc, v9, v42, vcc
	global_store_dwordx4 v[4:5], v[0:3], off
.LBB0_2:
	s_endpgm
	.section	.rodata,"a",@progbits
	.p2align	6, 0x0
	.amdhsa_kernel bluestein_single_back_len3072_dim1_dp_op_CI_CI
		.amdhsa_group_segment_fixed_size 49152
		.amdhsa_private_segment_fixed_size 156
		.amdhsa_kernarg_size 104
		.amdhsa_user_sgpr_count 6
		.amdhsa_user_sgpr_private_segment_buffer 1
		.amdhsa_user_sgpr_dispatch_ptr 0
		.amdhsa_user_sgpr_queue_ptr 0
		.amdhsa_user_sgpr_kernarg_segment_ptr 1
		.amdhsa_user_sgpr_dispatch_id 0
		.amdhsa_user_sgpr_flat_scratch_init 0
		.amdhsa_user_sgpr_private_segment_size 0
		.amdhsa_uses_dynamic_stack 0
		.amdhsa_system_sgpr_private_segment_wavefront_offset 1
		.amdhsa_system_sgpr_workgroup_id_x 1
		.amdhsa_system_sgpr_workgroup_id_y 0
		.amdhsa_system_sgpr_workgroup_id_z 0
		.amdhsa_system_sgpr_workgroup_info 0
		.amdhsa_system_vgpr_workitem_id 0
		.amdhsa_next_free_vgpr 256
		.amdhsa_next_free_sgpr 24
		.amdhsa_reserve_vcc 1
		.amdhsa_reserve_flat_scratch 0
		.amdhsa_float_round_mode_32 0
		.amdhsa_float_round_mode_16_64 0
		.amdhsa_float_denorm_mode_32 3
		.amdhsa_float_denorm_mode_16_64 3
		.amdhsa_dx10_clamp 1
		.amdhsa_ieee_mode 1
		.amdhsa_fp16_overflow 0
		.amdhsa_exception_fp_ieee_invalid_op 0
		.amdhsa_exception_fp_denorm_src 0
		.amdhsa_exception_fp_ieee_div_zero 0
		.amdhsa_exception_fp_ieee_overflow 0
		.amdhsa_exception_fp_ieee_underflow 0
		.amdhsa_exception_fp_ieee_inexact 0
		.amdhsa_exception_int_div_zero 0
	.end_amdhsa_kernel
	.text
.Lfunc_end0:
	.size	bluestein_single_back_len3072_dim1_dp_op_CI_CI, .Lfunc_end0-bluestein_single_back_len3072_dim1_dp_op_CI_CI
                                        ; -- End function
	.section	.AMDGPU.csdata,"",@progbits
; Kernel info:
; codeLenInByte = 15176
; NumSgprs: 28
; NumVgprs: 256
; ScratchSize: 156
; MemoryBound: 0
; FloatMode: 240
; IeeeMode: 1
; LDSByteSize: 49152 bytes/workgroup (compile time only)
; SGPRBlocks: 3
; VGPRBlocks: 63
; NumSGPRsForWavesPerEU: 28
; NumVGPRsForWavesPerEU: 256
; Occupancy: 1
; WaveLimiterHint : 1
; COMPUTE_PGM_RSRC2:SCRATCH_EN: 1
; COMPUTE_PGM_RSRC2:USER_SGPR: 6
; COMPUTE_PGM_RSRC2:TRAP_HANDLER: 0
; COMPUTE_PGM_RSRC2:TGID_X_EN: 1
; COMPUTE_PGM_RSRC2:TGID_Y_EN: 0
; COMPUTE_PGM_RSRC2:TGID_Z_EN: 0
; COMPUTE_PGM_RSRC2:TIDIG_COMP_CNT: 0
	.type	__hip_cuid_d71f7a45e0e6edbb,@object ; @__hip_cuid_d71f7a45e0e6edbb
	.section	.bss,"aw",@nobits
	.globl	__hip_cuid_d71f7a45e0e6edbb
__hip_cuid_d71f7a45e0e6edbb:
	.byte	0                               ; 0x0
	.size	__hip_cuid_d71f7a45e0e6edbb, 1

	.ident	"AMD clang version 19.0.0git (https://github.com/RadeonOpenCompute/llvm-project roc-6.4.0 25133 c7fe45cf4b819c5991fe208aaa96edf142730f1d)"
	.section	".note.GNU-stack","",@progbits
	.addrsig
	.addrsig_sym __hip_cuid_d71f7a45e0e6edbb
	.amdgpu_metadata
---
amdhsa.kernels:
  - .args:
      - .actual_access:  read_only
        .address_space:  global
        .offset:         0
        .size:           8
        .value_kind:     global_buffer
      - .actual_access:  read_only
        .address_space:  global
        .offset:         8
        .size:           8
        .value_kind:     global_buffer
      - .actual_access:  read_only
        .address_space:  global
        .offset:         16
        .size:           8
        .value_kind:     global_buffer
      - .actual_access:  read_only
        .address_space:  global
        .offset:         24
        .size:           8
        .value_kind:     global_buffer
      - .actual_access:  read_only
        .address_space:  global
        .offset:         32
        .size:           8
        .value_kind:     global_buffer
      - .offset:         40
        .size:           8
        .value_kind:     by_value
      - .address_space:  global
        .offset:         48
        .size:           8
        .value_kind:     global_buffer
      - .address_space:  global
        .offset:         56
        .size:           8
        .value_kind:     global_buffer
      - .address_space:  global
        .offset:         64
        .size:           8
        .value_kind:     global_buffer
      - .address_space:  global
        .offset:         72
        .size:           8
        .value_kind:     global_buffer
      - .offset:         80
        .size:           4
        .value_kind:     by_value
      - .address_space:  global
        .offset:         88
        .size:           8
        .value_kind:     global_buffer
      - .address_space:  global
        .offset:         96
        .size:           8
        .value_kind:     global_buffer
    .group_segment_fixed_size: 49152
    .kernarg_segment_align: 8
    .kernarg_segment_size: 104
    .language:       OpenCL C
    .language_version:
      - 2
      - 0
    .max_flat_workgroup_size: 256
    .name:           bluestein_single_back_len3072_dim1_dp_op_CI_CI
    .private_segment_fixed_size: 156
    .sgpr_count:     28
    .sgpr_spill_count: 0
    .symbol:         bluestein_single_back_len3072_dim1_dp_op_CI_CI.kd
    .uniform_work_group_size: 1
    .uses_dynamic_stack: false
    .vgpr_count:     256
    .vgpr_spill_count: 38
    .wavefront_size: 64
amdhsa.target:   amdgcn-amd-amdhsa--gfx906
amdhsa.version:
  - 1
  - 2
...

	.end_amdgpu_metadata
